;; amdgpu-corpus repo=ROCm/rocFFT kind=compiled arch=gfx1201 opt=O3
	.text
	.amdgcn_target "amdgcn-amd-amdhsa--gfx1201"
	.amdhsa_code_object_version 6
	.protected	bluestein_single_fwd_len396_dim1_dp_op_CI_CI ; -- Begin function bluestein_single_fwd_len396_dim1_dp_op_CI_CI
	.globl	bluestein_single_fwd_len396_dim1_dp_op_CI_CI
	.p2align	8
	.type	bluestein_single_fwd_len396_dim1_dp_op_CI_CI,@function
bluestein_single_fwd_len396_dim1_dp_op_CI_CI: ; @bluestein_single_fwd_len396_dim1_dp_op_CI_CI
; %bb.0:
	s_load_b128 s[8:11], s[0:1], 0x28
	v_mul_u32_u24_e32 v1, 0x5d2, v0
	s_mov_b32 s2, exec_lo
	v_mov_b32_e32 v125, 0
	s_delay_alu instid0(VALU_DEP_2) | instskip(NEXT) | instid1(VALU_DEP_1)
	v_lshrrev_b32_e32 v1, 16, v1
	v_add_nc_u32_e32 v124, ttmp9, v1
	s_wait_kmcnt 0x0
	s_delay_alu instid0(VALU_DEP_1)
	v_cmpx_gt_u64_e64 s[8:9], v[124:125]
	s_cbranch_execz .LBB0_23
; %bb.1:
	s_clause 0x1
	s_load_b64 s[12:13], s[0:1], 0x0
	s_load_b64 s[8:9], s[0:1], 0x38
	v_mul_lo_u16 v1, v1, 44
	s_delay_alu instid0(VALU_DEP_1) | instskip(NEXT) | instid1(VALU_DEP_1)
	v_sub_nc_u16 v0, v0, v1
	v_and_b32_e32 v206, 0xffff, v0
	v_cmp_gt_u16_e32 vcc_lo, 36, v0
	s_delay_alu instid0(VALU_DEP_2)
	v_lshlrev_b32_e32 v205, 4, v206
	s_and_saveexec_b32 s3, vcc_lo
	s_cbranch_execz .LBB0_3
; %bb.2:
	s_load_b64 s[4:5], s[0:1], 0x18
	s_wait_kmcnt 0x0
	s_load_b128 s[4:7], s[4:5], 0x0
	s_wait_kmcnt 0x0
	v_mad_co_u64_u32 v[8:9], null, s4, v206, 0
	v_mad_co_u64_u32 v[0:1], null, s6, v124, 0
	s_delay_alu instid0(VALU_DEP_2) | instskip(NEXT) | instid1(VALU_DEP_1)
	v_mov_b32_e32 v2, v9
	v_mad_co_u64_u32 v[3:4], null, s7, v124, v[1:2]
	s_delay_alu instid0(VALU_DEP_1) | instskip(SKIP_2) | instid1(VALU_DEP_2)
	v_mov_b32_e32 v1, v3
	v_mad_co_u64_u32 v[4:5], null, s5, v206, v[2:3]
	s_mul_u64 s[4:5], s[4:5], 0x240
	v_lshlrev_b64_e32 v[10:11], 4, v[0:1]
	s_delay_alu instid0(VALU_DEP_2) | instskip(SKIP_4) | instid1(VALU_DEP_1)
	v_mov_b32_e32 v9, v4
	s_clause 0x1
	global_load_b128 v[0:3], v205, s[12:13]
	global_load_b128 v[4:7], v205, s[12:13] offset:576
	v_add_co_u32 v18, s2, s10, v10
	v_add_co_ci_u32_e64 v19, s2, s11, v11, s2
	v_lshlrev_b64_e32 v[16:17], 4, v[8:9]
	s_clause 0x1
	global_load_b128 v[8:11], v205, s[12:13] offset:1152
	global_load_b128 v[12:15], v205, s[12:13] offset:1728
	v_add_co_u32 v32, s2, v18, v16
	s_wait_alu 0xf1ff
	v_add_co_ci_u32_e64 v33, s2, v19, v17, s2
	s_clause 0x1
	global_load_b128 v[16:19], v205, s[12:13] offset:2304
	global_load_b128 v[20:23], v205, s[12:13] offset:2880
	s_wait_alu 0xfffe
	v_add_co_u32 v36, s2, v32, s4
	s_wait_alu 0xf1ff
	v_add_co_ci_u32_e64 v37, s2, s5, v33, s2
	s_clause 0x1
	global_load_b128 v[24:27], v205, s[12:13] offset:3456
	global_load_b128 v[28:31], v205, s[12:13] offset:4032
	v_add_co_u32 v40, s2, v36, s4
	s_wait_alu 0xf1ff
	v_add_co_ci_u32_e64 v41, s2, s5, v37, s2
	s_clause 0x1
	global_load_b128 v[32:35], v[32:33], off
	global_load_b128 v[36:39], v[36:37], off
	v_add_co_u32 v44, s2, v40, s4
	s_wait_alu 0xf1ff
	v_add_co_ci_u32_e64 v45, s2, s5, v41, s2
	s_delay_alu instid0(VALU_DEP_2) | instskip(SKIP_1) | instid1(VALU_DEP_2)
	v_add_co_u32 v48, s2, v44, s4
	s_wait_alu 0xf1ff
	v_add_co_ci_u32_e64 v49, s2, s5, v45, s2
	s_clause 0x1
	global_load_b128 v[40:43], v[40:41], off
	global_load_b128 v[44:47], v[44:45], off
	v_add_co_u32 v52, s2, v48, s4
	s_wait_alu 0xf1ff
	v_add_co_ci_u32_e64 v53, s2, s5, v49, s2
	global_load_b128 v[48:51], v[48:49], off
	v_add_co_u32 v56, s2, v52, s4
	s_wait_alu 0xf1ff
	v_add_co_ci_u32_e64 v57, s2, s5, v53, s2
	;; [unrolled: 4-line block ×6, first 2 shown]
	s_clause 0x1
	global_load_b128 v[68:71], v205, s[12:13] offset:4608
	global_load_b128 v[72:75], v205, s[12:13] offset:5184
	global_load_b128 v[76:79], v[76:77], off
	global_load_b128 v[80:83], v205, s[12:13] offset:5760
	global_load_b128 v[84:87], v[84:85], off
	s_wait_loadcnt 0xd
	v_mul_f64_e32 v[88:89], v[34:35], v[2:3]
	v_mul_f64_e32 v[2:3], v[32:33], v[2:3]
	s_wait_loadcnt 0xc
	v_mul_f64_e32 v[90:91], v[38:39], v[6:7]
	v_mul_f64_e32 v[6:7], v[36:37], v[6:7]
	;; [unrolled: 3-line block ×11, first 2 shown]
	v_fma_f64 v[30:31], v[32:33], v[0:1], v[88:89]
	v_fma_f64 v[32:33], v[34:35], v[0:1], -v[2:3]
	v_fma_f64 v[0:1], v[36:37], v[4:5], v[90:91]
	v_fma_f64 v[2:3], v[38:39], v[4:5], -v[6:7]
	;; [unrolled: 2-line block ×11, first 2 shown]
	ds_store_b128 v205, v[30:33]
	ds_store_b128 v205, v[0:3] offset:576
	ds_store_b128 v205, v[4:7] offset:1152
	;; [unrolled: 1-line block ×10, first 2 shown]
.LBB0_3:
	s_or_b32 exec_lo, exec_lo, s3
	s_clause 0x1
	s_load_b64 s[4:5], s[0:1], 0x20
	s_load_b64 s[2:3], s[0:1], 0x8
	global_wb scope:SCOPE_SE
	s_wait_dscnt 0x0
	s_wait_kmcnt 0x0
	s_barrier_signal -1
	s_barrier_wait -1
	global_inv scope:SCOPE_SE
                                        ; implicit-def: $vgpr8_vgpr9
                                        ; implicit-def: $vgpr36_vgpr37
                                        ; implicit-def: $vgpr28_vgpr29
                                        ; implicit-def: $vgpr16_vgpr17
                                        ; implicit-def: $vgpr12_vgpr13
                                        ; implicit-def: $vgpr0_vgpr1
                                        ; implicit-def: $vgpr4_vgpr5
                                        ; implicit-def: $vgpr20_vgpr21
                                        ; implicit-def: $vgpr24_vgpr25
                                        ; implicit-def: $vgpr40_vgpr41
                                        ; implicit-def: $vgpr32_vgpr33
	s_and_saveexec_b32 s0, vcc_lo
	s_cbranch_execz .LBB0_5
; %bb.4:
	ds_load_b128 v[8:11], v205
	ds_load_b128 v[32:35], v205 offset:576
	ds_load_b128 v[40:43], v205 offset:1152
	ds_load_b128 v[36:39], v205 offset:1728
	ds_load_b128 v[28:31], v205 offset:2304
	ds_load_b128 v[24:27], v205 offset:2880
	ds_load_b128 v[20:23], v205 offset:3456
	ds_load_b128 v[16:19], v205 offset:4032
	ds_load_b128 v[12:15], v205 offset:4608
	ds_load_b128 v[4:7], v205 offset:5184
	ds_load_b128 v[0:3], v205 offset:5760
.LBB0_5:
	s_wait_alu 0xfffe
	s_or_b32 exec_lo, exec_lo, s0
	s_wait_dscnt 0x0
	v_add_f64_e64 v[122:123], v[34:35], -v[2:3]
	v_add_f64_e64 v[46:47], v[32:33], -v[0:1]
	s_mov_b32 s0, 0xf8bb580b
	s_mov_b32 s6, 0x8eee2c13
	s_mov_b32 s1, 0xbfe14ced
	s_mov_b32 s7, 0xbfed1bb4
	v_add_f64_e32 v[44:45], v[0:1], v[32:33]
	v_add_f64_e32 v[125:126], v[2:3], v[34:35]
	v_add_f64_e64 v[62:63], v[42:43], -v[6:7]
	v_add_f64_e64 v[48:49], v[40:41], -v[4:5]
	s_mov_b32 s16, 0x8764f0ba
	s_mov_b32 s10, 0xd9c712b6
	s_mov_b32 s14, 0xbb3a28a1
	s_mov_b32 s17, 0x3feaeb8c
	s_mov_b32 s11, 0x3fda9628
	s_mov_b32 s15, 0xbfe82f19
	v_add_f64_e32 v[80:81], v[4:5], v[40:41]
	v_add_f64_e32 v[127:128], v[6:7], v[42:43]
	v_add_f64_e64 v[102:103], v[38:39], -v[14:15]
	v_add_f64_e64 v[56:57], v[36:37], -v[12:13]
	s_mov_b32 s20, 0x43842ef
	s_mov_b32 s18, 0x7f775887
	;; [unrolled: 10-line block ×3, first 2 shown]
	s_mov_b32 s23, 0xbfc2375f
	s_mov_b32 s25, 0x3fefac9e
	;; [unrolled: 1-line block ×4, first 2 shown]
	v_add_f64_e32 v[131:132], v[30:31], v[18:19]
	v_add_f64_e64 v[94:95], v[26:27], -v[22:23]
	s_wait_alu 0xfffe
	v_mul_f64_e32 v[50:51], s[0:1], v[122:123]
	v_mul_f64_e32 v[52:53], s[0:1], v[46:47]
	;; [unrolled: 1-line block ×4, first 2 shown]
	s_mov_b32 s31, 0xbfd207e7
	s_mov_b32 s35, 0x3fe14ced
	;; [unrolled: 1-line block ×4, first 2 shown]
	v_mul_f64_e32 v[86:87], s[6:7], v[62:63]
	v_mul_f64_e32 v[96:97], s[6:7], v[48:49]
	;; [unrolled: 1-line block ×4, first 2 shown]
	v_add_f64_e32 v[116:117], v[22:23], v[26:27]
	v_mul_lo_u16 v207, v206, 11
	global_wb scope:SCOPE_SE
	s_barrier_signal -1
	s_barrier_wait -1
	global_inv scope:SCOPE_SE
	v_mul_f64_e32 v[98:99], s[20:21], v[102:103]
	v_mul_f64_e32 v[100:101], s[20:21], v[56:57]
	;; [unrolled: 1-line block ×8, first 2 shown]
	v_fma_f64 v[54:55], v[44:45], s[16:17], v[50:51]
	v_fma_f64 v[60:61], v[125:126], s[16:17], -v[52:53]
	v_fma_f64 v[64:65], v[44:45], s[10:11], v[112:113]
	v_fma_f64 v[66:67], v[125:126], s[10:11], -v[114:115]
	;; [unrolled: 2-line block ×6, first 2 shown]
	v_fma_f64 v[143:144], v[131:132], s[18:19], -v[90:91]
	v_fma_f64 v[147:148], v[131:132], s[22:23], -v[104:105]
	v_add_f64_e32 v[76:77], v[8:9], v[54:55]
	v_add_f64_e32 v[60:61], v[10:11], v[60:61]
	;; [unrolled: 1-line block ×5, first 2 shown]
	v_add_f64_e64 v[54:55], v[24:25], -v[20:21]
	v_add_f64_e32 v[68:69], v[68:69], v[76:77]
	v_add_f64_e32 v[70:71], v[70:71], v[60:61]
	;; [unrolled: 1-line block ×5, first 2 shown]
	v_mul_f64_e32 v[66:67], s[30:31], v[94:95]
	v_mul_f64_e32 v[76:77], s[30:31], v[54:55]
	;; [unrolled: 1-line block ×4, first 2 shown]
	v_fma_f64 v[141:142], v[64:65], s[18:19], v[88:89]
	v_fma_f64 v[145:146], v[64:65], s[22:23], v[92:93]
	v_add_f64_e32 v[68:69], v[133:134], v[68:69]
	v_add_f64_e32 v[70:71], v[135:136], v[70:71]
	;; [unrolled: 1-line block ×4, first 2 shown]
	v_fma_f64 v[133:134], v[60:61], s[28:29], v[66:67]
	v_fma_f64 v[135:136], v[116:117], s[28:29], -v[76:77]
	v_fma_f64 v[137:138], v[60:61], s[16:17], v[78:79]
	v_fma_f64 v[139:140], v[116:117], s[16:17], -v[84:85]
	v_add_f64_e32 v[68:69], v[141:142], v[68:69]
	v_add_f64_e32 v[70:71], v[143:144], v[70:71]
	v_add_f64_e32 v[141:142], v[145:146], v[72:73]
	v_add_f64_e32 v[143:144], v[147:148], v[74:75]
	s_delay_alu instid0(VALU_DEP_4) | instskip(NEXT) | instid1(VALU_DEP_4)
	v_add_f64_e32 v[72:73], v[133:134], v[68:69]
	v_add_f64_e32 v[74:75], v[135:136], v[70:71]
	s_delay_alu instid0(VALU_DEP_4) | instskip(NEXT) | instid1(VALU_DEP_4)
	v_add_f64_e32 v[68:69], v[137:138], v[141:142]
	v_add_f64_e32 v[70:71], v[139:140], v[143:144]
	s_and_saveexec_b32 s33, vcc_lo
	s_cbranch_execz .LBB0_7
; %bb.6:
	v_add_f64_e32 v[34:35], v[10:11], v[34:35]
	v_add_f64_e32 v[32:33], v[8:9], v[32:33]
	v_mul_f64_e32 v[135:136], s[10:11], v[125:126]
	v_mul_f64_e32 v[137:138], s[10:11], v[44:45]
	;; [unrolled: 1-line block ×4, first 2 shown]
	s_mov_b32 s37, 0x3fe82f19
	s_mov_b32 s36, s14
	v_mul_f64_e32 v[153:154], s[16:17], v[127:128]
	v_mul_f64_e32 v[159:160], s[18:19], v[127:128]
	;; [unrolled: 1-line block ×7, first 2 shown]
	s_mov_b32 s39, 0x3fed1bb4
	s_mov_b32 s38, s6
	v_mul_f64_e32 v[143:144], s[18:19], v[129:130]
	v_mul_f64_e32 v[149:150], s[16:17], v[129:130]
	;; [unrolled: 1-line block ×19, first 2 shown]
	v_add_f64_e32 v[34:35], v[42:43], v[34:35]
	v_add_f64_e32 v[32:33], v[40:41], v[32:33]
	v_mul_f64_e32 v[40:41], s[18:19], v[125:126]
	v_mul_f64_e32 v[42:43], s[22:23], v[125:126]
	v_add_f64_e32 v[114:115], v[114:115], v[135:136]
	v_add_f64_e64 v[112:113], v[137:138], -v[112:113]
	v_fma_f64 v[137:138], v[44:45], s[18:19], -v[133:134]
	v_fma_f64 v[133:134], v[44:45], s[18:19], v[133:134]
	v_add_f64_e64 v[118:119], v[165:166], -v[118:119]
	v_fma_f64 v[165:166], v[80:81], s[22:23], -v[173:174]
	v_add_f64_e32 v[110:111], v[110:111], v[157:158]
	v_add_f64_e64 v[108:109], v[163:164], -v[108:109]
	v_add_f64_e32 v[100:101], v[100:101], v[129:130]
	v_add_f64_e64 v[98:99], v[169:170], -v[98:99]
	v_fma_f64 v[129:130], v[82:83], s[18:19], v[177:178]
	v_fma_f64 v[157:158], v[82:83], s[16:17], v[179:180]
	v_fma_f64 v[163:164], v[82:83], s[16:17], -v[179:180]
	v_fma_f64 v[169:170], v[82:83], s[10:11], v[102:103]
	v_add_f64_e32 v[104:105], v[104:105], v[155:156]
	v_add_f64_e64 v[92:93], v[161:162], -v[92:93]
	v_add_f64_e32 v[90:91], v[90:91], v[131:132]
	v_fma_f64 v[131:132], v[64:65], s[28:29], -v[181:182]
	v_add_f64_e64 v[88:89], v[167:168], -v[88:89]
	v_add_f64_e32 v[34:35], v[38:39], v[34:35]
	v_add_f64_e32 v[32:33], v[36:37], v[32:33]
	v_mul_f64_e32 v[36:37], s[28:29], v[125:126]
	v_mul_f64_e32 v[38:39], s[30:31], v[122:123]
	;; [unrolled: 1-line block ×4, first 2 shown]
	v_fma_f64 v[189:190], v[46:47], s[36:37], v[40:41]
	v_fma_f64 v[40:41], v[46:47], s[14:15], v[40:41]
	;; [unrolled: 1-line block ×4, first 2 shown]
	v_add_f64_e32 v[114:115], v[10:11], v[114:115]
	v_add_f64_e32 v[112:113], v[8:9], v[112:113]
	v_add_f64_e32 v[137:138], v[8:9], v[137:138]
	v_add_f64_e32 v[133:134], v[8:9], v[133:134]
	v_add_f64_e32 v[30:31], v[30:31], v[34:35]
	v_add_f64_e32 v[28:29], v[28:29], v[32:33]
	v_mul_f64_e32 v[32:33], s[22:23], v[127:128]
	v_mul_f64_e32 v[34:35], s[28:29], v[127:128]
	;; [unrolled: 1-line block ×3, first 2 shown]
	v_fma_f64 v[185:186], v[46:47], s[26:27], v[36:37]
	v_fma_f64 v[187:188], v[44:45], s[28:29], v[38:39]
	v_fma_f64 v[135:136], v[44:45], s[22:23], -v[122:123]
	v_fma_f64 v[36:37], v[46:47], s[30:31], v[36:37]
	v_fma_f64 v[38:39], v[44:45], s[28:29], -v[38:39]
	v_fma_f64 v[44:45], v[44:45], s[22:23], v[122:123]
	v_add_f64_e32 v[46:47], v[52:53], v[125:126]
	v_fma_f64 v[122:123], v[48:49], s[0:1], v[153:154]
	v_fma_f64 v[125:126], v[48:49], s[34:35], v[153:154]
	v_add_f64_e32 v[40:41], v[10:11], v[40:41]
	v_add_f64_e32 v[42:43], v[10:11], v[42:43]
	v_mul_f64_e32 v[52:53], s[10:11], v[116:117]
	v_add_f64_e32 v[26:27], v[26:27], v[30:31]
	v_add_f64_e32 v[24:25], v[24:25], v[28:29]
	v_add_f64_e64 v[28:29], v[139:140], -v[50:51]
	v_fma_f64 v[139:140], v[48:49], s[20:21], v[32:33]
	v_fma_f64 v[32:33], v[48:49], s[24:25], v[32:33]
	;; [unrolled: 1-line block ×4, first 2 shown]
	v_add_f64_e32 v[48:49], v[120:121], v[159:160]
	v_add_f64_e32 v[96:97], v[96:97], v[127:128]
	v_fma_f64 v[120:121], v[80:81], s[16:17], v[171:172]
	v_fma_f64 v[127:128], v[80:81], s[16:17], -v[171:172]
	v_fma_f64 v[159:160], v[80:81], s[22:23], v[173:174]
	v_fma_f64 v[171:172], v[80:81], s[28:29], v[62:63]
	v_fma_f64 v[62:63], v[80:81], s[28:29], -v[62:63]
	v_add_f64_e64 v[80:81], v[175:176], -v[86:87]
	v_add_f64_e32 v[86:87], v[10:11], v[185:186]
	v_add_f64_e32 v[173:174], v[8:9], v[187:188]
	;; [unrolled: 1-line block ×9, first 2 shown]
	v_mul_f64_e32 v[46:47], s[38:39], v[106:107]
	v_fma_f64 v[106:107], v[56:57], s[36:37], v[143:144]
	v_fma_f64 v[143:144], v[56:57], s[14:15], v[143:144]
	;; [unrolled: 1-line block ×6, first 2 shown]
	v_fma_f64 v[151:152], v[82:83], s[18:19], -v[177:178]
	v_fma_f64 v[82:83], v[82:83], s[10:11], -v[102:103]
	v_mul_f64_e32 v[30:31], s[22:23], v[116:117]
	v_mul_f64_e32 v[50:51], s[20:21], v[94:95]
	v_add_f64_e32 v[22:23], v[22:23], v[26:27]
	v_add_f64_e32 v[20:21], v[20:21], v[24:25]
	;; [unrolled: 1-line block ×3, first 2 shown]
	v_mul_f64_e32 v[24:25], s[18:19], v[116:117]
	v_add_f64_e32 v[32:33], v[32:33], v[40:41]
	v_add_f64_e32 v[42:43], v[153:154], v[42:43]
	v_mul_f64_e32 v[26:27], s[14:15], v[94:95]
	v_add_f64_e32 v[40:41], v[48:49], v[114:115]
	v_add_f64_e32 v[48:49], v[118:119], v[112:113]
	;; [unrolled: 1-line block ×3, first 2 shown]
	v_mul_f64_e32 v[28:29], s[28:29], v[116:117]
	v_add_f64_e32 v[114:115], v[159:160], v[133:134]
	v_fma_f64 v[118:119], v[58:59], s[26:27], v[145:146]
	v_fma_f64 v[133:134], v[64:65], s[16:17], v[183:184]
	v_mul_f64_e32 v[94:95], s[38:39], v[94:95]
	v_add_f64_e32 v[86:87], v[122:123], v[86:87]
	v_add_f64_e32 v[102:103], v[120:121], v[173:174]
	;; [unrolled: 1-line block ×9, first 2 shown]
	v_fma_f64 v[96:97], v[58:59], s[6:7], v[141:142]
	v_fma_f64 v[122:123], v[58:59], s[30:31], v[145:146]
	;; [unrolled: 1-line block ×4, first 2 shown]
	v_fma_f64 v[135:136], v[64:65], s[16:17], -v[183:184]
	v_fma_f64 v[137:138], v[64:65], s[10:11], v[46:47]
	v_fma_f64 v[46:47], v[64:65], s[10:11], -v[46:47]
	v_add_f64_e32 v[18:19], v[18:19], v[22:23]
	v_add_f64_e32 v[16:17], v[16:17], v[20:21]
	;; [unrolled: 1-line block ×3, first 2 shown]
	v_mul_f64_e32 v[20:21], s[16:17], v[116:117]
	v_mul_f64_e32 v[22:23], s[16:17], v[60:61]
	v_fma_f64 v[116:117], v[58:59], s[38:39], v[141:142]
	v_fma_f64 v[58:59], v[58:59], s[0:1], v[147:148]
	v_add_f64_e32 v[40:41], v[110:111], v[40:41]
	v_add_f64_e32 v[48:49], v[108:109], v[48:49]
	;; [unrolled: 1-line block ×4, first 2 shown]
	v_mul_f64_e32 v[80:81], s[28:29], v[60:61]
	v_add_f64_e32 v[76:77], v[76:77], v[28:29]
	v_fma_f64 v[28:29], v[60:61], s[10:11], v[94:95]
	v_add_f64_e32 v[64:65], v[106:107], v[86:87]
	v_add_f64_e32 v[86:87], v[129:130], v[102:103]
	;; [unrolled: 1-line block ×11, first 2 shown]
	v_fma_f64 v[100:101], v[54:55], s[36:37], v[24:25]
	v_fma_f64 v[106:107], v[60:61], s[18:19], v[26:27]
	;; [unrolled: 1-line block ×3, first 2 shown]
	v_add_f64_e32 v[14:15], v[14:15], v[18:19]
	v_add_f64_e32 v[12:13], v[12:13], v[16:17]
	;; [unrolled: 1-line block ×3, first 2 shown]
	v_fma_f64 v[16:17], v[54:55], s[24:25], v[30:31]
	v_fma_f64 v[18:19], v[60:61], s[22:23], v[50:51]
	;; [unrolled: 1-line block ×5, first 2 shown]
	v_fma_f64 v[54:55], v[60:61], s[18:19], -v[26:27]
	v_add_f64_e32 v[20:21], v[84:85], v[20:21]
	v_add_f64_e64 v[78:79], v[22:23], -v[78:79]
	v_add_f64_e32 v[40:41], v[104:105], v[40:41]
	v_add_f64_e32 v[48:49], v[92:93], v[48:49]
	v_fma_f64 v[50:51], v[60:61], s[22:23], -v[50:51]
	v_fma_f64 v[60:61], v[60:61], s[10:11], -v[94:95]
	v_add_f64_e32 v[22:23], v[96:97], v[64:65]
	v_add_f64_e32 v[26:27], v[137:138], v[86:87]
	;; [unrolled: 1-line block ×12, first 2 shown]
	v_add_f64_e64 v[66:67], v[80:81], -v[66:67]
	v_add_f64_e32 v[64:65], v[90:91], v[10:11]
	v_add_f64_e32 v[80:81], v[6:7], v[14:15]
	;; [unrolled: 1-line block ×19, first 2 shown]
	v_and_b32_e32 v36, 0xffff, v207
	s_delay_alu instid0(VALU_DEP_1)
	v_lshlrev_b32_e32 v36, 4, v36
	v_add_f64_e32 v[2:3], v[2:3], v[80:81]
	v_add_f64_e32 v[0:1], v[0:1], v[82:83]
	;; [unrolled: 1-line block ×3, first 2 shown]
	ds_store_b128 v36, v[24:27] offset:32
	ds_store_b128 v36, v[20:23] offset:48
	;; [unrolled: 1-line block ×8, first 2 shown]
	ds_store_b128 v36, v[0:3]
	ds_store_b128 v36, v[32:35] offset:16
	ds_store_b128 v36, v[72:75] offset:160
.LBB0_7:
	s_or_b32 exec_lo, exec_lo, s33
	v_and_b32_e32 v0, 0xff, v206
	s_load_b128 s[4:7], s[4:5], 0x0
	global_wb scope:SCOPE_SE
	s_wait_dscnt 0x0
	s_wait_kmcnt 0x0
	s_barrier_signal -1
	s_barrier_wait -1
	v_mul_lo_u16 v0, 0x75, v0
	global_inv scope:SCOPE_SE
	s_mov_b32 s0, 0x8c811c17
	s_mov_b32 s14, 0xa2cf5039
	s_mov_b32 s11, 0x3fe491b7
	v_lshrrev_b16 v0, 8, v0
	s_mov_b32 s10, 0x523c161c
	s_mov_b32 s1, 0x3fef838b
	;; [unrolled: 1-line block ×4, first 2 shown]
	v_sub_nc_u16 v1, v206, v0
	s_mov_b32 s17, 0xbfee11f6
	s_delay_alu instid0(VALU_DEP_1) | instskip(NEXT) | instid1(VALU_DEP_1)
	v_lshrrev_b16 v1, 1, v1
	v_and_b32_e32 v1, 0x7f, v1
	s_delay_alu instid0(VALU_DEP_1) | instskip(NEXT) | instid1(VALU_DEP_1)
	v_add_nc_u16 v0, v1, v0
	v_lshrrev_b16 v125, 3, v0
	s_delay_alu instid0(VALU_DEP_1) | instskip(NEXT) | instid1(VALU_DEP_1)
	v_mul_lo_u16 v0, v125, 11
	v_sub_nc_u16 v0, v206, v0
	s_delay_alu instid0(VALU_DEP_1) | instskip(NEXT) | instid1(VALU_DEP_1)
	v_and_b32_e32 v126, 0xff, v0
	v_lshlrev_b32_e32 v0, 7, v126
	s_clause 0x7
	global_load_b128 v[8:11], v0, s[2:3]
	global_load_b128 v[32:35], v0, s[2:3] offset:112
	global_load_b128 v[28:31], v0, s[2:3] offset:16
	;; [unrolled: 1-line block ×7, first 2 shown]
	ds_load_b128 v[16:19], v205 offset:704
	ds_load_b128 v[20:23], v205 offset:5632
	;; [unrolled: 1-line block ×7, first 2 shown]
	s_wait_loadcnt_dscnt 0x706
	v_mul_f64_e32 v[60:61], v[18:19], v[10:11]
	v_mul_f64_e32 v[62:63], v[16:17], v[10:11]
	s_wait_loadcnt_dscnt 0x605
	v_mul_f64_e32 v[64:65], v[22:23], v[34:35]
	v_mul_f64_e32 v[66:67], v[20:21], v[34:35]
	;; [unrolled: 3-line block ×3, first 2 shown]
	s_wait_loadcnt_dscnt 0x403
	v_mul_f64_e32 v[80:81], v[46:47], v[14:15]
	s_wait_loadcnt_dscnt 0x302
	v_mul_f64_e32 v[82:83], v[50:51], v[42:43]
	v_mul_f64_e32 v[84:85], v[44:45], v[14:15]
	;; [unrolled: 1-line block ×3, first 2 shown]
	s_wait_loadcnt_dscnt 0x201
	v_mul_f64_e32 v[88:89], v[54:55], v[38:39]
	v_mul_f64_e32 v[90:91], v[52:53], v[38:39]
	v_fma_f64 v[60:61], v[16:17], v[8:9], -v[60:61]
	v_fma_f64 v[62:63], v[18:19], v[8:9], v[62:63]
	v_fma_f64 v[20:21], v[20:21], v[32:33], -v[64:65]
	v_fma_f64 v[22:23], v[22:23], v[32:33], v[66:67]
	;; [unrolled: 2-line block ×3, first 2 shown]
	v_fma_f64 v[44:45], v[44:45], v[12:13], -v[80:81]
	v_fma_f64 v[48:49], v[48:49], v[40:41], -v[82:83]
	v_fma_f64 v[46:47], v[46:47], v[12:13], v[84:85]
	v_fma_f64 v[50:51], v[50:51], v[40:41], v[86:87]
	v_fma_f64 v[52:53], v[52:53], v[36:37], -v[88:89]
	v_fma_f64 v[54:55], v[54:55], v[36:37], v[90:91]
	ds_load_b128 v[16:19], v205 offset:4224
	s_wait_loadcnt_dscnt 0x101
	v_mul_f64_e32 v[64:65], v[58:59], v[6:7]
	v_mul_f64_e32 v[66:67], v[56:57], v[6:7]
	v_add_f64_e64 v[80:81], v[60:61], -v[20:21]
	v_add_f64_e64 v[82:83], v[62:63], -v[22:23]
	v_add_f64_e32 v[60:61], v[60:61], v[20:21]
	v_add_f64_e32 v[62:63], v[62:63], v[22:23]
	ds_load_b128 v[20:23], v205
	s_wait_loadcnt_dscnt 0x1
	v_mul_f64_e32 v[76:77], v[18:19], v[2:3]
	v_mul_f64_e32 v[78:79], v[16:17], v[2:3]
	v_add_f64_e32 v[84:85], v[44:45], v[48:49]
	v_add_f64_e64 v[86:87], v[44:45], -v[48:49]
	v_add_f64_e64 v[88:89], v[46:47], -v[50:51]
	v_add_f64_e32 v[90:91], v[24:25], v[52:53]
	v_add_f64_e32 v[92:93], v[26:27], v[54:55]
	v_add_f64_e32 v[94:95], v[46:47], v[50:51]
	v_fma_f64 v[56:57], v[56:57], v[4:5], -v[64:65]
	v_fma_f64 v[58:59], v[58:59], v[4:5], v[66:67]
	v_add_f64_e64 v[24:25], v[24:25], -v[52:53]
	v_add_f64_e64 v[26:27], v[26:27], -v[54:55]
	global_wb scope:SCOPE_SE
	s_wait_dscnt 0x0
	s_barrier_signal -1
	s_barrier_wait -1
	global_inv scope:SCOPE_SE
	s_wait_alu 0xfffe
	v_mul_f64_e32 v[52:53], s[10:11], v[80:81]
	v_mul_f64_e32 v[54:55], s[10:11], v[82:83]
	v_fma_f64 v[64:65], v[60:61], s[14:15], v[20:21]
	v_fma_f64 v[66:67], v[62:63], s[14:15], v[22:23]
	s_mov_b32 s11, 0xbfe491b7
	v_fma_f64 v[16:17], v[16:17], v[0:1], -v[76:77]
	v_fma_f64 v[18:19], v[18:19], v[0:1], v[78:79]
	v_fma_f64 v[76:77], v[84:85], s[14:15], v[20:21]
	v_mul_f64_e32 v[78:79], s[0:1], v[86:87]
	v_mul_f64_e32 v[96:97], s[0:1], v[88:89]
	v_fma_f64 v[98:99], v[90:91], s[14:15], v[20:21]
	v_fma_f64 v[100:101], v[92:93], s[14:15], v[22:23]
	;; [unrolled: 1-line block ×3, first 2 shown]
	s_wait_alu 0xfffe
	v_mul_f64_e32 v[104:105], s[10:11], v[88:89]
	v_mul_f64_e32 v[106:107], s[10:11], v[86:87]
	v_add_f64_e32 v[112:113], v[90:91], v[60:61]
	v_add_f64_e32 v[114:115], v[92:93], v[62:63]
	s_mov_b32 s14, 0x7e0b738b
	s_mov_b32 s15, 0x3fc63a1a
	v_fma_f64 v[52:53], v[24:25], s[0:1], v[52:53]
	v_fma_f64 v[54:55], v[26:27], s[0:1], v[54:55]
	v_add_f64_e32 v[108:109], v[56:57], v[16:17]
	v_add_f64_e32 v[110:111], v[58:59], v[18:19]
	v_add_f64_e64 v[16:17], v[56:57], -v[16:17]
	v_add_f64_e64 v[18:19], v[58:59], -v[18:19]
	s_wait_alu 0xfffe
	v_fma_f64 v[56:57], v[90:91], s[14:15], v[64:65]
	v_fma_f64 v[58:59], v[92:93], s[14:15], v[66:67]
	;; [unrolled: 1-line block ×3, first 2 shown]
	v_fma_f64 v[66:67], v[24:25], s[10:11], -v[78:79]
	v_fma_f64 v[76:77], v[26:27], s[10:11], -v[96:97]
	v_fma_f64 v[78:79], v[84:85], s[14:15], v[98:99]
	v_fma_f64 v[96:97], v[94:95], s[14:15], v[100:101]
	;; [unrolled: 1-line block ×5, first 2 shown]
	v_add_f64_e32 v[120:121], v[84:85], v[112:113]
	v_add_f64_e32 v[122:123], v[94:95], v[114:115]
	s_mov_b32 s0, 0xe8584cab
	s_mov_b32 s1, 0x3febb67a
	;; [unrolled: 1-line block ×3, first 2 shown]
	s_wait_alu 0xfffe
	s_mov_b32 s10, s0
	v_add_f64_e32 v[104:105], v[86:87], v[80:81]
	v_add_f64_e32 v[106:107], v[88:89], v[82:83]
	s_mov_b32 s14, 0x748a0bf8
	s_mov_b32 s15, 0x3fd5e3a8
	v_add_f64_e32 v[112:113], v[108:109], v[112:113]
	v_add_f64_e32 v[114:115], v[110:111], v[114:115]
	v_fma_f64 v[52:53], v[16:17], s[0:1], v[52:53]
	v_fma_f64 v[54:55], v[18:19], s[0:1], v[54:55]
	v_fma_f64 v[56:57], v[108:109], -0.5, v[56:57]
	v_fma_f64 v[58:59], v[110:111], -0.5, v[58:59]
	;; [unrolled: 1-line block ×3, first 2 shown]
	v_fma_f64 v[66:67], v[16:17], s[0:1], v[66:67]
	v_fma_f64 v[76:77], v[18:19], s[0:1], v[76:77]
	v_fma_f64 v[78:79], v[108:109], -0.5, v[78:79]
	v_fma_f64 v[96:97], v[110:111], -0.5, v[96:97]
	v_add_f64_e32 v[116:117], v[20:21], v[108:109]
	v_add_f64_e32 v[118:119], v[22:23], v[110:111]
	v_fma_f64 v[98:99], v[110:111], -0.5, v[98:99]
	s_wait_alu 0xfffe
	v_fma_f64 v[18:19], v[18:19], s[10:11], v[100:101]
	v_fma_f64 v[16:17], v[16:17], s[10:11], v[102:103]
	v_add_f64_e64 v[100:101], v[104:105], -v[24:25]
	v_add_f64_e64 v[102:103], v[106:107], -v[26:27]
	v_add_f64_e32 v[44:45], v[44:45], v[112:113]
	v_add_f64_e32 v[46:47], v[46:47], v[114:115]
	v_fma_f64 v[86:87], v[86:87], s[14:15], v[52:53]
	v_fma_f64 v[88:89], v[88:89], s[14:15], v[54:55]
	;; [unrolled: 1-line block ×9, first 2 shown]
	v_fma_f64 v[104:105], v[120:121], -0.5, v[116:117]
	v_fma_f64 v[106:107], v[122:123], -0.5, v[118:119]
	v_fma_f64 v[66:67], v[92:93], s[16:17], v[98:99]
	v_fma_f64 v[80:81], v[26:27], s[14:15], v[18:19]
	;; [unrolled: 1-line block ×3, first 2 shown]
                                        ; implicit-def: $vgpr112_vgpr113
	v_mul_f64_e32 v[76:77], s[0:1], v[100:101]
	v_mul_f64_e32 v[78:79], s[0:1], v[102:103]
	v_add_f64_e32 v[84:85], v[48:49], v[44:45]
	v_add_f64_e32 v[90:91], v[50:51], v[46:47]
	;; [unrolled: 1-line block ×3, first 2 shown]
	v_add_f64_e64 v[26:27], v[54:55], -v[86:87]
	v_add_f64_e32 v[44:45], v[64:65], v[60:61]
	v_add_f64_e64 v[46:47], v[62:63], -v[58:59]
	v_fma_f64 v[16:17], v[102:103], s[0:1], v[104:105]
	v_fma_f64 v[18:19], v[100:101], s[10:11], v[106:107]
	v_cmp_gt_u16_e64 s0, 11, v206
	v_add_f64_e32 v[48:49], v[80:81], v[56:57]
	v_add_f64_e64 v[50:51], v[66:67], -v[82:83]
	v_add_f64_e32 v[20:21], v[20:21], v[84:85]
	v_add_f64_e32 v[22:23], v[22:23], v[90:91]
	v_fma_f64 v[56:57], v[64:65], -2.0, v[44:45]
	v_fma_f64 v[58:59], v[58:59], 2.0, v[46:47]
	v_fma_f64 v[52:53], v[78:79], -2.0, v[16:17]
	v_fma_f64 v[54:55], v[76:77], 2.0, v[18:19]
	;; [unrolled: 2-line block ×4, first 2 shown]
	v_and_b32_e32 v64, 0xffff, v125
	s_delay_alu instid0(VALU_DEP_1) | instskip(NEXT) | instid1(VALU_DEP_1)
	v_mul_u32_u24_e32 v64, 0x63, v64
	v_add_lshl_u32 v208, v64, v126, 4
	ds_store_b128 v208, v[20:23]
	ds_store_b128 v208, v[24:27] offset:176
	ds_store_b128 v208, v[48:51] offset:352
	;; [unrolled: 1-line block ×8, first 2 shown]
	global_wb scope:SCOPE_SE
	s_wait_dscnt 0x0
	s_barrier_signal -1
	s_barrier_wait -1
	global_inv scope:SCOPE_SE
	ds_load_b128 v[80:83], v205
	ds_load_b128 v[84:87], v205 offset:704
	ds_load_b128 v[100:103], v205 offset:1584
	;; [unrolled: 1-line block ×7, first 2 shown]
	s_and_saveexec_b32 s1, s0
	s_cbranch_execz .LBB0_9
; %bb.8:
	ds_load_b128 v[76:79], v205 offset:1408
	ds_load_b128 v[68:71], v205 offset:2992
	;; [unrolled: 1-line block ×4, first 2 shown]
.LBB0_9:
	s_wait_alu 0xfffe
	s_or_b32 exec_lo, exec_lo, s1
	v_add_nc_u32_e32 v18, 0x58, v206
	v_add_nc_u32_e32 v19, -11, v206
	v_mad_co_u64_u32 v[16:17], null, v206, 48, s[2:3]
	s_clause 0x1
	global_load_b128 v[44:47], v[16:17], off offset:1424
	global_load_b128 v[60:63], v[16:17], off offset:1408
	v_cndmask_b32_e64 v18, v19, v18, s0
	s_clause 0x1
	global_load_b128 v[56:59], v[16:17], off offset:1440
	global_load_b128 v[52:55], v[16:17], off offset:3520
	v_mul_i32_i24_e32 v19, 48, v18
	v_mul_hi_i32_i24_e32 v20, 48, v18
	s_delay_alu instid0(VALU_DEP_2) | instskip(SKIP_1) | instid1(VALU_DEP_2)
	v_add_co_u32 v18, s1, s2, v19
	s_wait_alu 0xf1ff
	v_add_co_ci_u32_e64 v19, s1, s3, v20, s1
	s_clause 0x4
	global_load_b128 v[64:67], v[16:17], off offset:3536
	global_load_b128 v[48:51], v[16:17], off offset:3552
	global_load_b128 v[24:27], v[18:19], off offset:1408
	global_load_b128 v[20:23], v[18:19], off offset:1424
	global_load_b128 v[16:19], v[18:19], off offset:1440
	s_wait_loadcnt_dscnt 0x803
	v_mul_f64_e32 v[120:121], v[106:107], v[46:47]
	s_wait_loadcnt 0x7
	v_mul_f64_e32 v[116:117], v[102:103], v[62:63]
	v_mul_f64_e32 v[118:119], v[100:101], v[62:63]
	;; [unrolled: 1-line block ×3, first 2 shown]
	s_wait_loadcnt_dscnt 0x601
	v_mul_f64_e32 v[125:126], v[110:111], v[58:59]
	v_mul_f64_e32 v[127:128], v[108:109], v[58:59]
	s_wait_loadcnt 0x5
	v_mul_f64_e32 v[129:130], v[90:91], v[54:55]
	v_mul_f64_e32 v[131:132], v[88:89], v[54:55]
	s_wait_loadcnt 0x4
	v_mul_f64_e32 v[133:134], v[94:95], v[66:67]
	v_mul_f64_e32 v[135:136], v[92:93], v[66:67]
	s_wait_loadcnt_dscnt 0x300
	v_mul_f64_e32 v[137:138], v[98:99], v[50:51]
	v_mul_f64_e32 v[139:140], v[96:97], v[50:51]
	s_wait_loadcnt 0x2
	v_mul_f64_e32 v[141:142], v[70:71], v[26:27]
	v_mul_f64_e32 v[143:144], v[68:69], v[26:27]
	s_wait_loadcnt 0x1
	;; [unrolled: 3-line block ×3, first 2 shown]
	v_mul_f64_e32 v[149:150], v[114:115], v[18:19]
	v_mul_f64_e32 v[151:152], v[112:113], v[18:19]
	v_fma_f64 v[104:105], v[104:105], v[44:45], -v[120:121]
	v_fma_f64 v[100:101], v[100:101], v[60:61], -v[116:117]
	v_fma_f64 v[102:103], v[102:103], v[60:61], v[118:119]
	v_fma_f64 v[106:107], v[106:107], v[44:45], v[122:123]
	v_fma_f64 v[108:109], v[108:109], v[56:57], -v[125:126]
	v_fma_f64 v[110:111], v[110:111], v[56:57], v[127:128]
	v_fma_f64 v[88:89], v[88:89], v[52:53], -v[129:130]
	;; [unrolled: 2-line block ×7, first 2 shown]
	v_fma_f64 v[114:115], v[114:115], v[16:17], v[151:152]
	v_add_f64_e64 v[104:105], v[80:81], -v[104:105]
	v_add_f64_e64 v[106:107], v[82:83], -v[106:107]
	;; [unrolled: 1-line block ×12, first 2 shown]
	v_fma_f64 v[80:81], v[80:81], 2.0, -v[104:105]
	v_fma_f64 v[82:83], v[82:83], 2.0, -v[106:107]
	;; [unrolled: 1-line block ×4, first 2 shown]
	v_add_f64_e64 v[116:117], v[104:105], -v[110:111]
	v_add_f64_e32 v[118:119], v[106:107], v[108:109]
	v_fma_f64 v[122:123], v[84:85], 2.0, -v[92:93]
	v_fma_f64 v[125:126], v[86:87], 2.0, -v[94:95]
	;; [unrolled: 1-line block ×4, first 2 shown]
	v_add_f64_e64 v[96:97], v[92:93], -v[96:97]
	v_fma_f64 v[76:77], v[76:77], 2.0, -v[72:73]
	v_fma_f64 v[78:79], v[78:79], 2.0, -v[74:75]
	;; [unrolled: 1-line block ×4, first 2 shown]
	v_add_f64_e64 v[68:69], v[72:73], -v[114:115]
	v_add_f64_e64 v[108:109], v[80:81], -v[98:99]
	;; [unrolled: 1-line block ×3, first 2 shown]
	v_add_f64_e32 v[98:99], v[94:95], v[120:121]
	v_fma_f64 v[114:115], v[106:107], 2.0, -v[118:119]
	v_add_f64_e64 v[100:101], v[122:123], -v[84:85]
	v_add_f64_e64 v[102:103], v[125:126], -v[86:87]
	;; [unrolled: 1-line block ×4, first 2 shown]
	v_add_f64_e32 v[70:71], v[74:75], v[112:113]
	v_fma_f64 v[112:113], v[104:105], 2.0, -v[116:117]
	v_fma_f64 v[104:105], v[92:93], 2.0, -v[96:97]
	;; [unrolled: 1-line block ×8, first 2 shown]
	ds_store_b128 v205, v[80:83]
	ds_store_b128 v205, v[120:123] offset:704
	ds_store_b128 v205, v[112:115] offset:1584
	;; [unrolled: 1-line block ×7, first 2 shown]
	v_fma_f64 v[92:93], v[76:77], 2.0, -v[84:85]
	v_fma_f64 v[94:95], v[78:79], 2.0, -v[86:87]
	;; [unrolled: 1-line block ×3, first 2 shown]
	s_and_saveexec_b32 s1, s0
	s_cbranch_execz .LBB0_11
; %bb.10:
	ds_store_b128 v205, v[92:95] offset:1408
	ds_store_b128 v205, v[88:91] offset:2992
	;; [unrolled: 1-line block ×4, first 2 shown]
.LBB0_11:
	s_wait_alu 0xfffe
	s_or_b32 exec_lo, exec_lo, s1
	global_wb scope:SCOPE_SE
	s_wait_dscnt 0x0
	s_barrier_signal -1
	s_barrier_wait -1
	global_inv scope:SCOPE_SE
	s_and_saveexec_b32 s1, vcc_lo
	s_cbranch_execz .LBB0_13
; %bb.12:
	s_add_nc_u64 s[2:3], s[12:13], 0x18c0
	s_clause 0xa
	global_load_b128 v[72:75], v205, s[12:13] offset:6336
	global_load_b128 v[76:79], v205, s[2:3] offset:576
	;; [unrolled: 1-line block ×11, first 2 shown]
	ds_load_b128 v[161:164], v205
	ds_load_b128 v[165:168], v205 offset:576
	ds_load_b128 v[169:172], v205 offset:1152
	;; [unrolled: 1-line block ×10, first 2 shown]
	s_wait_loadcnt_dscnt 0xa0a
	v_mul_f64_e32 v[209:210], v[163:164], v[74:75]
	v_mul_f64_e32 v[74:75], v[161:162], v[74:75]
	s_wait_loadcnt_dscnt 0x909
	v_mul_f64_e32 v[211:212], v[167:168], v[78:79]
	v_mul_f64_e32 v[78:79], v[165:166], v[78:79]
	;; [unrolled: 3-line block ×11, first 2 shown]
	v_fma_f64 v[159:160], v[161:162], v[72:73], -v[209:210]
	v_fma_f64 v[161:162], v[163:164], v[72:73], v[74:75]
	v_fma_f64 v[72:73], v[165:166], v[76:77], -v[211:212]
	v_fma_f64 v[74:75], v[167:168], v[76:77], v[78:79]
	;; [unrolled: 2-line block ×11, first 2 shown]
	ds_store_b128 v205, v[159:162]
	ds_store_b128 v205, v[72:75] offset:576
	ds_store_b128 v205, v[76:79] offset:1152
	;; [unrolled: 1-line block ×10, first 2 shown]
.LBB0_13:
	s_wait_alu 0xfffe
	s_or_b32 exec_lo, exec_lo, s1
	global_wb scope:SCOPE_SE
	s_wait_dscnt 0x0
	s_barrier_signal -1
	s_barrier_wait -1
	global_inv scope:SCOPE_SE
	s_and_saveexec_b32 s1, vcc_lo
	s_cbranch_execz .LBB0_15
; %bb.14:
	ds_load_b128 v[80:83], v205
	ds_load_b128 v[112:115], v205 offset:576
	ds_load_b128 v[108:111], v205 offset:1152
	;; [unrolled: 1-line block ×10, first 2 shown]
.LBB0_15:
	s_wait_alu 0xfffe
	s_or_b32 exec_lo, exec_lo, s1
	s_wait_dscnt 0x0
	v_add_f64_e64 v[173:174], v[114:115], -v[86:87]
	v_add_f64_e32 v[175:176], v[86:87], v[114:115]
	s_mov_b32 s2, 0x8764f0ba
	s_mov_b32 s16, 0xf8bb580b
	;; [unrolled: 1-line block ×8, first 2 shown]
	v_add_f64_e32 v[167:168], v[84:85], v[112:113]
	v_add_f64_e64 v[177:178], v[112:113], -v[84:85]
	v_add_f64_e64 v[139:140], v[110:111], -v[90:91]
	v_add_f64_e32 v[127:128], v[90:91], v[110:111]
	s_mov_b32 s14, 0x7f775887
	s_mov_b32 s18, 0xbb3a28a1
	;; [unrolled: 1-line block ×4, first 2 shown]
	v_add_f64_e32 v[125:126], v[88:89], v[108:109]
	v_add_f64_e64 v[141:142], v[108:109], -v[88:89]
	v_add_f64_e64 v[147:148], v[118:119], -v[94:95]
	v_add_f64_e32 v[137:138], v[118:119], v[94:95]
	s_mov_b32 s24, 0x43842ef
	s_mov_b32 s26, 0x9bcd5057
	;; [unrolled: 1-line block ×6, first 2 shown]
	v_add_f64_e32 v[133:134], v[116:117], v[92:93]
	v_add_f64_e64 v[135:136], v[116:117], -v[92:93]
	v_add_f64_e32 v[153:154], v[122:123], v[98:99]
	v_add_f64_e64 v[163:164], v[122:123], -v[98:99]
	s_mov_b32 s35, 0x3fefac9e
	s_wait_alu 0xfffe
	s_mov_b32 s34, s24
	v_add_f64_e32 v[149:150], v[120:121], v[96:97]
	v_add_f64_e64 v[151:152], v[120:121], -v[96:97]
	v_add_f64_e32 v[169:170], v[102:103], v[106:107]
	v_add_f64_e64 v[183:184], v[106:107], -v[102:103]
	v_mul_f64_e32 v[185:186], s[16:17], v[173:174]
	v_mul_f64_e32 v[187:188], s[2:3], v[175:176]
	;; [unrolled: 1-line block ×4, first 2 shown]
	s_mov_b32 s29, 0xbfd207e7
	s_mov_b32 s37, 0x3fe14ced
	;; [unrolled: 1-line block ×4, first 2 shown]
	global_wb scope:SCOPE_SE
	s_barrier_signal -1
	s_barrier_wait -1
	global_inv scope:SCOPE_SE
	v_mul_f64_e32 v[129:130], s[20:21], v[139:140]
	v_mul_f64_e32 v[131:132], s[10:11], v[127:128]
	;; [unrolled: 1-line block ×10, first 2 shown]
	s_wait_alu 0xfffe
	v_mul_f64_e32 v[197:198], s[34:35], v[163:164]
	v_mul_f64_e32 v[199:200], s[22:23], v[153:154]
	;; [unrolled: 1-line block ×4, first 2 shown]
	v_fma_f64 v[72:73], v[167:168], s[2:3], -v[185:186]
	v_fma_f64 v[74:75], v[177:178], s[16:17], v[187:188]
	v_fma_f64 v[76:77], v[167:168], s[10:11], -v[193:194]
	v_fma_f64 v[78:79], v[177:178], s[20:21], v[195:196]
	;; [unrolled: 2-line block ×6, first 2 shown]
	v_fma_f64 v[219:220], v[151:152], s[18:19], v[157:158]
	v_fma_f64 v[217:218], v[149:150], s[14:15], -v[155:156]
	v_fma_f64 v[221:222], v[149:150], s[22:23], -v[197:198]
	v_fma_f64 v[223:224], v[151:152], s[34:35], v[199:200]
	v_add_f64_e32 v[72:73], v[80:81], v[72:73]
	v_add_f64_e32 v[74:75], v[82:83], v[74:75]
	;; [unrolled: 1-line block ×4, first 2 shown]
	s_delay_alu instid0(VALU_DEP_4) | instskip(NEXT) | instid1(VALU_DEP_4)
	v_add_f64_e32 v[72:73], v[159:160], v[72:73]
	v_add_f64_e32 v[74:75], v[161:162], v[74:75]
	s_delay_alu instid0(VALU_DEP_4) | instskip(NEXT) | instid1(VALU_DEP_4)
	v_add_f64_e32 v[76:77], v[165:166], v[76:77]
	v_add_f64_e32 v[78:79], v[171:172], v[78:79]
	;; [unrolled: 1-line block ×3, first 2 shown]
	v_add_f64_e64 v[161:162], v[104:105], -v[100:101]
	v_mul_f64_e32 v[165:166], s[28:29], v[183:184]
	v_mul_f64_e32 v[171:172], s[26:27], v[169:170]
	v_add_f64_e32 v[72:73], v[209:210], v[72:73]
	v_add_f64_e32 v[74:75], v[211:212], v[74:75]
	;; [unrolled: 1-line block ×4, first 2 shown]
	v_fma_f64 v[213:214], v[159:160], s[2:3], -v[201:202]
	v_fma_f64 v[215:216], v[161:162], s[36:37], v[203:204]
	v_fma_f64 v[209:210], v[159:160], s[26:27], -v[165:166]
	v_fma_f64 v[211:212], v[161:162], s[28:29], v[171:172]
	v_add_f64_e32 v[72:73], v[217:218], v[72:73]
	v_add_f64_e32 v[74:75], v[219:220], v[74:75]
	;; [unrolled: 1-line block ×4, first 2 shown]
	s_delay_alu instid0(VALU_DEP_4) | instskip(NEXT) | instid1(VALU_DEP_4)
	v_add_f64_e32 v[76:77], v[209:210], v[72:73]
	v_add_f64_e32 v[78:79], v[211:212], v[74:75]
	s_delay_alu instid0(VALU_DEP_4) | instskip(NEXT) | instid1(VALU_DEP_4)
	v_add_f64_e32 v[72:73], v[213:214], v[217:218]
	v_add_f64_e32 v[74:75], v[215:216], v[219:220]
	s_and_saveexec_b32 s1, vcc_lo
	s_cbranch_execz .LBB0_17
; %bb.16:
	v_add_f64_e32 v[112:113], v[80:81], v[112:113]
	v_add_f64_e32 v[114:115], v[82:83], v[114:115]
	s_delay_alu instid0(VALU_DEP_2) | instskip(NEXT) | instid1(VALU_DEP_2)
	v_add_f64_e32 v[108:109], v[108:109], v[112:113]
	v_add_f64_e32 v[110:111], v[110:111], v[114:115]
	s_delay_alu instid0(VALU_DEP_2) | instskip(NEXT) | instid1(VALU_DEP_2)
	v_add_f64_e32 v[108:109], v[116:117], v[108:109]
	v_add_f64_e32 v[110:111], v[118:119], v[110:111]
	v_mul_f64_e32 v[118:119], s[2:3], v[167:168]
	s_delay_alu instid0(VALU_DEP_3) | instskip(NEXT) | instid1(VALU_DEP_3)
	v_add_f64_e32 v[108:109], v[120:121], v[108:109]
	v_add_f64_e32 v[110:111], v[122:123], v[110:111]
	s_delay_alu instid0(VALU_DEP_3) | instskip(SKIP_1) | instid1(VALU_DEP_4)
	v_add_f64_e32 v[118:119], v[118:119], v[185:186]
	v_mul_f64_e32 v[185:186], s[24:25], v[161:162]
	v_add_f64_e32 v[104:105], v[104:105], v[108:109]
	s_delay_alu instid0(VALU_DEP_4)
	v_add_f64_e32 v[106:107], v[106:107], v[110:111]
	v_mul_f64_e32 v[108:109], s[18:19], v[173:174]
	v_mul_f64_e32 v[110:111], s[24:25], v[173:174]
	v_add_f64_e32 v[118:119], v[80:81], v[118:119]
	v_add_f64_e32 v[100:101], v[100:101], v[104:105]
	;; [unrolled: 1-line block ×3, first 2 shown]
	v_mul_f64_e32 v[106:107], s[28:29], v[173:174]
	v_fma_f64 v[114:115], v[167:168], s[14:15], v[108:109]
	v_fma_f64 v[108:109], v[167:168], s[14:15], -v[108:109]
	v_fma_f64 v[116:117], v[167:168], s[22:23], v[110:111]
	v_fma_f64 v[110:111], v[167:168], s[22:23], -v[110:111]
	v_mul_f64_e32 v[104:105], s[16:17], v[177:178]
	v_add_f64_e32 v[96:97], v[96:97], v[100:101]
	v_add_f64_e32 v[98:99], v[98:99], v[102:103]
	v_mul_f64_e32 v[100:101], s[24:25], v[177:178]
	v_fma_f64 v[112:113], v[167:168], s[26:27], -v[106:107]
	v_fma_f64 v[106:107], v[167:168], s[26:27], v[106:107]
	v_add_f64_e32 v[116:117], v[80:81], v[116:117]
	v_add_f64_e32 v[114:115], v[80:81], v[114:115]
	;; [unrolled: 1-line block ×4, first 2 shown]
	v_add_f64_e64 v[104:105], v[187:188], -v[104:105]
	v_mul_f64_e32 v[187:188], s[24:25], v[183:184]
	v_add_f64_e32 v[92:93], v[92:93], v[96:97]
	v_add_f64_e32 v[94:95], v[94:95], v[98:99]
	v_mul_f64_e32 v[96:97], s[18:19], v[177:178]
	v_fma_f64 v[102:103], v[175:176], s[22:23], -v[100:101]
	v_add_f64_e32 v[112:113], v[80:81], v[112:113]
	v_add_f64_e32 v[106:107], v[80:81], v[106:107]
	v_fma_f64 v[100:101], v[175:176], s[22:23], v[100:101]
	v_add_f64_e32 v[173:174], v[82:83], v[104:105]
	v_add_f64_e32 v[88:89], v[88:89], v[92:93]
	;; [unrolled: 1-line block ×3, first 2 shown]
	v_mul_f64_e32 v[92:93], s[28:29], v[177:178]
	v_fma_f64 v[98:99], v[175:176], s[14:15], v[96:97]
	v_fma_f64 v[96:97], v[175:176], s[14:15], -v[96:97]
	v_add_f64_e32 v[84:85], v[84:85], v[88:89]
	v_mul_f64_e32 v[88:89], s[20:21], v[177:178]
	v_add_f64_e32 v[86:87], v[86:87], v[90:91]
	v_mul_f64_e32 v[90:91], s[10:11], v[167:168]
	v_fma_f64 v[94:95], v[175:176], s[26:27], v[92:93]
	v_add_f64_e32 v[120:121], v[82:83], v[98:99]
	v_add_f64_e32 v[122:123], v[82:83], v[96:97]
	v_add_f64_e32 v[96:97], v[82:83], v[102:103]
	v_fma_f64 v[92:93], v[175:176], s[26:27], -v[92:93]
	v_add_f64_e32 v[167:168], v[82:83], v[100:101]
	v_add_f64_e64 v[88:89], v[195:196], -v[88:89]
	v_add_f64_e32 v[90:91], v[90:91], v[193:194]
	v_add_f64_e32 v[94:95], v[82:83], v[94:95]
	;; [unrolled: 1-line block ×3, first 2 shown]
	s_delay_alu instid0(VALU_DEP_4) | instskip(SKIP_3) | instid1(VALU_DEP_3)
	v_add_f64_e32 v[98:99], v[82:83], v[88:89]
	v_mul_f64_e32 v[88:89], s[36:37], v[141:142]
	v_add_f64_e32 v[102:103], v[80:81], v[90:91]
	v_mul_f64_e32 v[90:91], s[36:37], v[139:140]
	v_fma_f64 v[80:81], v[127:128], s[2:3], v[88:89]
	v_fma_f64 v[88:89], v[127:128], s[2:3], -v[88:89]
	s_delay_alu instid0(VALU_DEP_3) | instskip(SKIP_1) | instid1(VALU_DEP_4)
	v_fma_f64 v[82:83], v[125:126], s[2:3], -v[90:91]
	v_fma_f64 v[90:91], v[125:126], s[2:3], v[90:91]
	v_add_f64_e32 v[80:81], v[80:81], v[94:95]
	v_mul_f64_e32 v[94:95], s[18:19], v[135:136]
	s_delay_alu instid0(VALU_DEP_4)
	v_add_f64_e32 v[82:83], v[82:83], v[112:113]
	v_mul_f64_e32 v[112:113], s[20:21], v[141:142]
	s_mov_b32 s21, 0x3fed1bb4
	v_add_f64_e32 v[88:89], v[88:89], v[92:93]
	v_add_f64_e32 v[90:91], v[90:91], v[106:107]
	v_mul_f64_e32 v[106:107], s[34:35], v[151:152]
	v_fma_f64 v[100:101], v[137:138], s[14:15], v[94:95]
	v_fma_f64 v[92:93], v[137:138], s[14:15], -v[94:95]
	v_fma_f64 v[94:95], v[159:160], s[22:23], v[187:188]
	v_add_f64_e64 v[112:113], v[131:132], -v[112:113]
	v_add_f64_e64 v[106:107], v[199:200], -v[106:107]
	v_add_f64_e32 v[80:81], v[100:101], v[80:81]
	v_mul_f64_e32 v[100:101], s[18:19], v[147:148]
	v_add_f64_e32 v[88:89], v[92:93], v[88:89]
	v_add_f64_e32 v[112:113], v[112:113], v[173:174]
	s_delay_alu instid0(VALU_DEP_3) | instskip(SKIP_2) | instid1(VALU_DEP_3)
	v_fma_f64 v[104:105], v[133:134], s[14:15], -v[100:101]
	v_fma_f64 v[92:93], v[133:134], s[14:15], v[100:101]
	v_mul_f64_e32 v[100:101], s[30:31], v[135:136]
	v_add_f64_e32 v[82:83], v[104:105], v[82:83]
	s_wait_alu 0xfffe
	v_mul_f64_e32 v[104:105], s[20:21], v[151:152]
	s_delay_alu instid0(VALU_DEP_4) | instskip(NEXT) | instid1(VALU_DEP_4)
	v_add_f64_e32 v[90:91], v[92:93], v[90:91]
	v_add_f64_e64 v[100:101], v[191:192], -v[100:101]
	s_delay_alu instid0(VALU_DEP_3) | instskip(SKIP_2) | instid1(VALU_DEP_3)
	v_fma_f64 v[175:176], v[153:154], s[10:11], v[104:105]
	v_fma_f64 v[92:93], v[153:154], s[10:11], -v[104:105]
	v_mul_f64_e32 v[104:105], s[26:27], v[133:134]
	v_add_f64_e32 v[80:81], v[175:176], v[80:81]
	v_mul_f64_e32 v[175:176], s[20:21], v[163:164]
	s_delay_alu instid0(VALU_DEP_4) | instskip(NEXT) | instid1(VALU_DEP_4)
	v_add_f64_e32 v[88:89], v[92:93], v[88:89]
	v_add_f64_e32 v[104:105], v[104:105], v[189:190]
	v_mul_f64_e32 v[189:190], s[18:19], v[183:184]
	s_delay_alu instid0(VALU_DEP_4) | instskip(SKIP_2) | instid1(VALU_DEP_3)
	v_fma_f64 v[92:93], v[149:150], s[10:11], v[175:176]
	v_fma_f64 v[177:178], v[149:150], s[10:11], -v[175:176]
	v_mul_f64_e32 v[175:176], s[22:23], v[149:150]
	v_add_f64_e32 v[92:93], v[92:93], v[90:91]
	v_fma_f64 v[90:91], v[169:170], s[22:23], -v[185:186]
	s_delay_alu instid0(VALU_DEP_4)
	v_add_f64_e32 v[177:178], v[177:178], v[82:83]
	v_fma_f64 v[82:83], v[169:170], s[22:23], v[185:186]
	v_add_f64_e32 v[175:176], v[175:176], v[197:198]
	v_mul_f64_e32 v[185:186], s[16:17], v[163:164]
	v_add_f64_e32 v[90:91], v[90:91], v[88:89]
	v_add_f64_e32 v[88:89], v[94:95], v[92:93]
	v_mul_f64_e32 v[92:93], s[18:19], v[141:142]
	v_mul_f64_e32 v[94:95], s[14:15], v[125:126]
	v_add_f64_e32 v[82:83], v[82:83], v[80:81]
	v_fma_f64 v[80:81], v[159:160], s[22:23], -v[187:188]
	v_mul_f64_e32 v[187:188], s[18:19], v[161:162]
	v_add_f64_e64 v[92:93], v[181:182], -v[92:93]
	v_add_f64_e32 v[94:95], v[94:95], v[179:180]
	v_mul_f64_e32 v[179:180], s[20:21], v[147:148]
	v_add_f64_e32 v[80:81], v[80:81], v[177:178]
	v_mul_f64_e32 v[177:178], s[30:31], v[139:140]
	v_mul_f64_e32 v[181:182], s[16:17], v[151:152]
	v_add_f64_e32 v[92:93], v[92:93], v[98:99]
	v_add_f64_e32 v[94:95], v[94:95], v[102:103]
	v_mul_f64_e32 v[98:99], s[36:37], v[161:162]
	s_delay_alu instid0(VALU_DEP_3) | instskip(NEXT) | instid1(VALU_DEP_3)
	v_add_f64_e32 v[92:93], v[100:101], v[92:93]
	v_add_f64_e32 v[94:95], v[104:105], v[94:95]
	s_delay_alu instid0(VALU_DEP_3)
	v_add_f64_e64 v[98:99], v[203:204], -v[98:99]
	v_mul_f64_e32 v[100:101], s[2:3], v[159:160]
	v_mul_f64_e32 v[104:105], s[34:35], v[141:142]
	v_add_f64_e32 v[92:93], v[106:107], v[92:93]
	v_add_f64_e32 v[102:103], v[175:176], v[94:95]
	v_mul_f64_e32 v[175:176], s[30:31], v[141:142]
	v_add_f64_e32 v[100:101], v[100:101], v[201:202]
	v_mul_f64_e32 v[106:107], s[34:35], v[139:140]
	v_add_f64_e32 v[94:95], v[98:99], v[92:93]
	s_delay_alu instid0(VALU_DEP_4) | instskip(NEXT) | instid1(VALU_DEP_4)
	v_fma_f64 v[98:99], v[127:128], s[26:27], -v[175:176]
	v_add_f64_e32 v[92:93], v[100:101], v[102:103]
	s_delay_alu instid0(VALU_DEP_4) | instskip(SKIP_1) | instid1(VALU_DEP_4)
	v_fma_f64 v[102:103], v[125:126], s[22:23], v[106:107]
	v_fma_f64 v[106:107], v[125:126], s[22:23], -v[106:107]
	v_add_f64_e32 v[96:97], v[98:99], v[96:97]
	v_fma_f64 v[98:99], v[125:126], s[26:27], v[177:178]
	s_delay_alu instid0(VALU_DEP_4) | instskip(SKIP_2) | instid1(VALU_DEP_4)
	v_add_f64_e32 v[102:103], v[102:103], v[114:115]
	v_mul_f64_e32 v[114:115], s[16:17], v[135:136]
	v_add_f64_e32 v[106:107], v[106:107], v[108:109]
	v_add_f64_e32 v[98:99], v[98:99], v[116:117]
	v_mul_f64_e32 v[116:117], s[20:21], v[135:136]
	s_delay_alu instid0(VALU_DEP_4) | instskip(NEXT) | instid1(VALU_DEP_2)
	v_fma_f64 v[108:109], v[137:138], s[2:3], v[114:115]
	v_fma_f64 v[100:101], v[137:138], s[10:11], -v[116:117]
	v_fma_f64 v[116:117], v[137:138], s[10:11], v[116:117]
	s_delay_alu instid0(VALU_DEP_2) | instskip(SKIP_1) | instid1(VALU_DEP_1)
	v_add_f64_e32 v[96:97], v[100:101], v[96:97]
	v_fma_f64 v[100:101], v[133:134], s[10:11], v[179:180]
	v_add_f64_e32 v[98:99], v[100:101], v[98:99]
	v_fma_f64 v[100:101], v[153:154], s[2:3], -v[181:182]
	s_delay_alu instid0(VALU_DEP_1) | instskip(SKIP_1) | instid1(VALU_DEP_1)
	v_add_f64_e32 v[96:97], v[100:101], v[96:97]
	v_fma_f64 v[100:101], v[149:150], s[2:3], v[185:186]
	v_add_f64_e32 v[100:101], v[100:101], v[98:99]
	v_fma_f64 v[98:99], v[169:170], s[14:15], -v[187:188]
	s_delay_alu instid0(VALU_DEP_1) | instskip(SKIP_1) | instid1(VALU_DEP_1)
	v_add_f64_e32 v[98:99], v[98:99], v[96:97]
	v_fma_f64 v[96:97], v[159:160], s[14:15], v[189:190]
	v_add_f64_e32 v[96:97], v[96:97], v[100:101]
	v_fma_f64 v[100:101], v[127:128], s[22:23], -v[104:105]
	v_fma_f64 v[104:105], v[127:128], s[22:23], v[104:105]
	s_delay_alu instid0(VALU_DEP_2) | instskip(SKIP_1) | instid1(VALU_DEP_3)
	v_add_f64_e32 v[100:101], v[100:101], v[122:123]
	v_fma_f64 v[122:123], v[137:138], s[2:3], -v[114:115]
	v_add_f64_e32 v[104:105], v[104:105], v[120:121]
	v_fma_f64 v[120:121], v[169:170], s[14:15], v[187:188]
	s_delay_alu instid0(VALU_DEP_3) | instskip(SKIP_1) | instid1(VALU_DEP_4)
	v_add_f64_e32 v[100:101], v[122:123], v[100:101]
	v_mul_f64_e32 v[122:123], s[16:17], v[147:148]
	v_add_f64_e32 v[104:105], v[108:109], v[104:105]
	s_delay_alu instid0(VALU_DEP_2) | instskip(SKIP_2) | instid1(VALU_DEP_3)
	v_fma_f64 v[139:140], v[133:134], s[2:3], v[122:123]
	v_fma_f64 v[108:109], v[133:134], s[2:3], -v[122:123]
	v_fma_f64 v[122:123], v[125:126], s[26:27], -v[177:178]
	v_add_f64_e32 v[102:103], v[139:140], v[102:103]
	v_mul_f64_e32 v[139:140], s[28:29], v[151:152]
	s_delay_alu instid0(VALU_DEP_4) | instskip(NEXT) | instid1(VALU_DEP_4)
	v_add_f64_e32 v[106:107], v[108:109], v[106:107]
	v_add_f64_e32 v[110:111], v[122:123], v[110:111]
	v_mul_f64_e32 v[122:123], s[18:19], v[151:152]
	s_delay_alu instid0(VALU_DEP_4) | instskip(SKIP_1) | instid1(VALU_DEP_3)
	v_fma_f64 v[141:142], v[153:154], s[26:27], -v[139:140]
	v_fma_f64 v[108:109], v[153:154], s[26:27], v[139:140]
	v_add_f64_e64 v[122:123], v[157:158], -v[122:123]
	s_delay_alu instid0(VALU_DEP_3) | instskip(SKIP_4) | instid1(VALU_DEP_4)
	v_add_f64_e32 v[100:101], v[141:142], v[100:101]
	v_mul_f64_e32 v[141:142], s[28:29], v[163:164]
	v_mul_f64_e32 v[163:164], s[20:21], v[183:184]
	;; [unrolled: 1-line block ×3, first 2 shown]
	v_add_f64_e32 v[104:105], v[108:109], v[104:105]
	v_fma_f64 v[108:109], v[149:150], s[26:27], -v[141:142]
	s_delay_alu instid0(VALU_DEP_4) | instskip(SKIP_1) | instid1(VALU_DEP_3)
	v_fma_f64 v[114:115], v[159:160], s[10:11], -v[163:164]
	v_fma_f64 v[147:148], v[149:150], s[26:27], v[141:142]
	v_add_f64_e32 v[108:109], v[108:109], v[106:107]
	v_fma_f64 v[106:107], v[169:170], s[10:11], v[183:184]
	s_delay_alu instid0(VALU_DEP_3) | instskip(SKIP_1) | instid1(VALU_DEP_3)
	v_add_f64_e32 v[147:148], v[147:148], v[102:103]
	v_fma_f64 v[102:103], v[169:170], s[10:11], -v[183:184]
	v_add_f64_e32 v[106:107], v[106:107], v[104:105]
	v_add_f64_e32 v[104:105], v[114:115], v[108:109]
	v_fma_f64 v[108:109], v[127:128], s[26:27], v[175:176]
	v_fma_f64 v[114:115], v[153:154], s[2:3], v[181:182]
	v_add_f64_e32 v[102:103], v[102:103], v[100:101]
	v_fma_f64 v[100:101], v[159:160], s[10:11], v[163:164]
	s_delay_alu instid0(VALU_DEP_4) | instskip(NEXT) | instid1(VALU_DEP_2)
	v_add_f64_e32 v[108:109], v[108:109], v[167:168]
	v_add_f64_e32 v[100:101], v[100:101], v[147:148]
	s_delay_alu instid0(VALU_DEP_2) | instskip(SKIP_1) | instid1(VALU_DEP_2)
	v_add_f64_e32 v[108:109], v[116:117], v[108:109]
	v_fma_f64 v[116:117], v[133:134], s[10:11], -v[179:180]
	v_add_f64_e32 v[108:109], v[114:115], v[108:109]
	s_delay_alu instid0(VALU_DEP_2) | instskip(SKIP_2) | instid1(VALU_DEP_2)
	v_add_f64_e32 v[110:111], v[116:117], v[110:111]
	v_fma_f64 v[114:115], v[149:150], s[2:3], -v[185:186]
	v_fma_f64 v[116:117], v[159:160], s[14:15], -v[189:190]
	v_add_f64_e32 v[114:115], v[114:115], v[110:111]
	v_add_f64_e32 v[110:111], v[120:121], v[108:109]
	v_mul_f64_e32 v[120:121], s[22:23], v[133:134]
	s_delay_alu instid0(VALU_DEP_3) | instskip(SKIP_2) | instid1(VALU_DEP_4)
	v_add_f64_e32 v[108:109], v[116:117], v[114:115]
	v_mul_f64_e32 v[114:115], s[10:11], v[125:126]
	v_mul_f64_e32 v[116:117], s[24:25], v[135:136]
	v_add_f64_e32 v[120:121], v[120:121], v[143:144]
	v_mul_f64_e32 v[125:126], s[14:15], v[149:150]
	s_delay_alu instid0(VALU_DEP_4) | instskip(NEXT) | instid1(VALU_DEP_4)
	v_add_f64_e32 v[114:115], v[114:115], v[129:130]
	v_add_f64_e64 v[116:117], v[145:146], -v[116:117]
	s_delay_alu instid0(VALU_DEP_3) | instskip(NEXT) | instid1(VALU_DEP_3)
	v_add_f64_e32 v[125:126], v[125:126], v[155:156]
	v_add_f64_e32 v[114:115], v[114:115], v[118:119]
	v_mul_f64_e32 v[118:119], s[28:29], v[161:162]
	s_delay_alu instid0(VALU_DEP_4) | instskip(SKIP_1) | instid1(VALU_DEP_4)
	v_add_f64_e32 v[112:113], v[116:117], v[112:113]
	v_mul_f64_e32 v[116:117], s[26:27], v[159:160]
	v_add_f64_e32 v[114:115], v[120:121], v[114:115]
	s_delay_alu instid0(VALU_DEP_4) | instskip(NEXT) | instid1(VALU_DEP_4)
	v_add_f64_e64 v[118:119], v[171:172], -v[118:119]
	v_add_f64_e32 v[112:113], v[122:123], v[112:113]
	s_delay_alu instid0(VALU_DEP_4) | instskip(NEXT) | instid1(VALU_DEP_4)
	v_add_f64_e32 v[116:117], v[116:117], v[165:166]
	v_add_f64_e32 v[120:121], v[125:126], v[114:115]
	s_delay_alu instid0(VALU_DEP_3) | instskip(NEXT) | instid1(VALU_DEP_2)
	v_add_f64_e32 v[114:115], v[118:119], v[112:113]
	v_add_f64_e32 v[112:113], v[116:117], v[120:121]
	v_and_b32_e32 v116, 0xffff, v207
	s_delay_alu instid0(VALU_DEP_1)
	v_lshlrev_b32_e32 v116, 4, v116
	ds_store_b128 v116, v[92:95] offset:32
	ds_store_b128 v116, v[96:99] offset:48
	;; [unrolled: 1-line block ×9, first 2 shown]
	ds_store_b128 v116, v[84:87]
	ds_store_b128 v116, v[76:79] offset:160
.LBB0_17:
	s_wait_alu 0xfffe
	s_or_b32 exec_lo, exec_lo, s1
	global_wb scope:SCOPE_SE
	s_wait_dscnt 0x0
	s_barrier_signal -1
	s_barrier_wait -1
	global_inv scope:SCOPE_SE
	ds_load_b128 v[80:83], v205 offset:704
	ds_load_b128 v[84:87], v205 offset:5632
	;; [unrolled: 1-line block ×7, first 2 shown]
	s_mov_b32 s2, 0x8c811c17
	s_mov_b32 s14, 0xa2cf5039
	;; [unrolled: 1-line block ×8, first 2 shown]
	s_wait_dscnt 0x6
	v_mul_f64_e32 v[108:109], v[10:11], v[82:83]
	v_mul_f64_e32 v[10:11], v[10:11], v[80:81]
	s_wait_dscnt 0x5
	v_mul_f64_e32 v[110:111], v[34:35], v[86:87]
	v_mul_f64_e32 v[34:35], v[34:35], v[84:85]
	;; [unrolled: 3-line block ×3, first 2 shown]
	s_wait_dscnt 0x3
	v_mul_f64_e32 v[114:115], v[14:15], v[94:95]
	s_wait_dscnt 0x2
	v_mul_f64_e32 v[116:117], v[42:43], v[98:99]
	v_mul_f64_e32 v[14:15], v[14:15], v[92:93]
	;; [unrolled: 1-line block ×3, first 2 shown]
	s_wait_dscnt 0x1
	v_mul_f64_e32 v[118:119], v[38:39], v[102:103]
	v_mul_f64_e32 v[38:39], v[38:39], v[100:101]
	v_fma_f64 v[80:81], v[8:9], v[80:81], v[108:109]
	v_fma_f64 v[82:83], v[8:9], v[82:83], -v[10:11]
	v_fma_f64 v[84:85], v[32:33], v[84:85], v[110:111]
	v_fma_f64 v[32:33], v[32:33], v[86:87], -v[34:35]
	;; [unrolled: 2-line block ×3, first 2 shown]
	v_fma_f64 v[30:31], v[12:13], v[92:93], v[114:115]
	v_fma_f64 v[86:87], v[40:41], v[96:97], v[116:117]
	v_fma_f64 v[88:89], v[12:13], v[94:95], -v[14:15]
	v_fma_f64 v[40:41], v[40:41], v[98:99], -v[42:43]
	v_fma_f64 v[42:43], v[36:37], v[100:101], v[118:119]
	v_fma_f64 v[36:37], v[36:37], v[102:103], -v[38:39]
	ds_load_b128 v[8:11], v205 offset:4224
	ds_load_b128 v[12:15], v205
	s_wait_dscnt 0x2
	v_mul_f64_e32 v[38:39], v[6:7], v[106:107]
	v_mul_f64_e32 v[6:7], v[6:7], v[104:105]
	global_wb scope:SCOPE_SE
	s_wait_dscnt 0x0
	s_barrier_signal -1
	s_barrier_wait -1
	global_inv scope:SCOPE_SE
	v_mul_f64_e32 v[90:91], v[2:3], v[10:11]
	v_mul_f64_e32 v[2:3], v[2:3], v[8:9]
	v_add_f64_e64 v[92:93], v[80:81], -v[84:85]
	v_add_f64_e64 v[94:95], v[82:83], -v[32:33]
	v_add_f64_e32 v[80:81], v[80:81], v[84:85]
	v_add_f64_e32 v[32:33], v[82:83], v[32:33]
	;; [unrolled: 1-line block ×3, first 2 shown]
	v_add_f64_e64 v[84:85], v[30:31], -v[86:87]
	v_add_f64_e64 v[96:97], v[88:89], -v[40:41]
	v_add_f64_e32 v[98:99], v[34:35], v[42:43]
	v_add_f64_e32 v[100:101], v[28:29], v[36:37]
	;; [unrolled: 1-line block ×3, first 2 shown]
	v_fma_f64 v[38:39], v[4:5], v[104:105], v[38:39]
	v_fma_f64 v[4:5], v[4:5], v[106:107], -v[6:7]
	v_fma_f64 v[6:7], v[0:1], v[8:9], v[90:91]
	v_fma_f64 v[0:1], v[0:1], v[10:11], -v[2:3]
	v_add_f64_e64 v[2:3], v[34:35], -v[42:43]
	v_add_f64_e64 v[8:9], v[28:29], -v[36:37]
	s_wait_alu 0xfffe
	v_mul_f64_e32 v[10:11], s[10:11], v[92:93]
	v_mul_f64_e32 v[28:29], s[10:11], v[94:95]
	v_fma_f64 v[34:35], v[80:81], s[14:15], v[12:13]
	v_fma_f64 v[36:37], v[32:33], s[14:15], v[14:15]
	s_mov_b32 s11, 0xbfe491b7
	v_fma_f64 v[42:43], v[82:83], s[14:15], v[12:13]
	v_mul_f64_e32 v[90:91], s[2:3], v[84:85]
	v_mul_f64_e32 v[104:105], s[2:3], v[96:97]
	v_fma_f64 v[106:107], v[98:99], s[14:15], v[12:13]
	v_fma_f64 v[108:109], v[100:101], s[14:15], v[14:15]
	;; [unrolled: 1-line block ×3, first 2 shown]
	s_wait_alu 0xfffe
	v_mul_f64_e32 v[112:113], s[10:11], v[96:97]
	v_mul_f64_e32 v[114:115], s[10:11], v[84:85]
	v_add_f64_e32 v[120:121], v[98:99], v[80:81]
	v_add_f64_e32 v[122:123], v[100:101], v[32:33]
	s_mov_b32 s14, 0x7e0b738b
	s_mov_b32 s15, 0x3fc63a1a
	v_add_f64_e32 v[116:117], v[38:39], v[6:7]
	v_add_f64_e32 v[118:119], v[4:5], v[0:1]
	v_add_f64_e64 v[6:7], v[38:39], -v[6:7]
	v_add_f64_e64 v[0:1], v[4:5], -v[0:1]
	v_fma_f64 v[4:5], v[2:3], s[2:3], v[10:11]
	v_fma_f64 v[10:11], v[8:9], s[2:3], v[28:29]
	s_wait_alu 0xfffe
	v_fma_f64 v[28:29], v[98:99], s[14:15], v[34:35]
	v_fma_f64 v[34:35], v[100:101], s[14:15], v[36:37]
	;; [unrolled: 1-line block ×3, first 2 shown]
	v_fma_f64 v[38:39], v[2:3], s[10:11], -v[90:91]
	v_fma_f64 v[42:43], v[8:9], s[10:11], -v[104:105]
	v_fma_f64 v[90:91], v[82:83], s[14:15], v[106:107]
	v_fma_f64 v[104:105], v[102:103], s[14:15], v[108:109]
	;; [unrolled: 1-line block ×5, first 2 shown]
	v_add_f64_e32 v[129:130], v[82:83], v[120:121]
	v_add_f64_e32 v[131:132], v[102:103], v[122:123]
	s_mov_b32 s2, 0xe8584cab
	s_mov_b32 s3, 0x3febb67a
	s_mov_b32 s11, 0xbfebb67a
	s_wait_alu 0xfffe
	s_mov_b32 s10, s2
	v_add_f64_e32 v[112:113], v[84:85], v[92:93]
	v_add_f64_e32 v[114:115], v[96:97], v[94:95]
	s_mov_b32 s14, 0x748a0bf8
	s_mov_b32 s15, 0x3fd5e3a8
	v_add_f64_e32 v[120:121], v[116:117], v[120:121]
	v_add_f64_e32 v[122:123], v[118:119], v[122:123]
	;; [unrolled: 1-line block ×4, first 2 shown]
	v_fma_f64 v[4:5], v[6:7], s[2:3], v[4:5]
	v_fma_f64 v[10:11], v[0:1], s[2:3], v[10:11]
	v_fma_f64 v[28:29], v[116:117], -0.5, v[28:29]
	v_fma_f64 v[34:35], v[118:119], -0.5, v[34:35]
	;; [unrolled: 1-line block ×3, first 2 shown]
	v_fma_f64 v[38:39], v[6:7], s[2:3], v[38:39]
	v_fma_f64 v[42:43], v[0:1], s[2:3], v[42:43]
	v_fma_f64 v[90:91], v[116:117], -0.5, v[90:91]
	v_fma_f64 v[104:105], v[118:119], -0.5, v[104:105]
	;; [unrolled: 1-line block ×3, first 2 shown]
	s_wait_alu 0xfffe
	v_fma_f64 v[0:1], v[0:1], s[10:11], v[108:109]
	v_fma_f64 v[6:7], v[6:7], s[10:11], v[110:111]
	v_add_f64_e64 v[108:109], v[112:113], -v[2:3]
	v_add_f64_e64 v[110:111], v[114:115], -v[8:9]
	v_add_f64_e32 v[30:31], v[30:31], v[120:121]
	v_add_f64_e32 v[88:89], v[88:89], v[122:123]
	v_fma_f64 v[112:113], v[129:130], -0.5, v[125:126]
	v_fma_f64 v[114:115], v[131:132], -0.5, v[127:128]
	v_fma_f64 v[84:85], v[84:85], s[14:15], v[4:5]
	v_fma_f64 v[96:97], v[96:97], s[14:15], v[10:11]
	;; [unrolled: 1-line block ×12, first 2 shown]
	v_mul_f64_e32 v[0:1], s[2:3], v[108:109]
	v_mul_f64_e32 v[2:3], s[2:3], v[110:111]
	v_add_f64_e32 v[86:87], v[86:87], v[30:31]
	v_add_f64_e32 v[40:41], v[40:41], v[88:89]
	v_fma_f64 v[4:5], v[110:111], s[10:11], v[112:113]
	v_fma_f64 v[6:7], v[108:109], s[2:3], v[114:115]
	v_add_f64_e64 v[8:9], v[10:11], -v[96:97]
	v_add_f64_e32 v[10:11], v[84:85], v[34:35]
	v_add_f64_e64 v[28:29], v[28:29], -v[42:43]
	v_add_f64_e32 v[30:31], v[82:83], v[32:33]
	;; [unrolled: 2-line block ×3, first 2 shown]
	v_add_f64_e32 v[12:13], v[12:13], v[86:87]
	v_add_f64_e32 v[14:15], v[14:15], v[40:41]
	v_fma_f64 v[36:37], v[2:3], 2.0, v[4:5]
	v_fma_f64 v[38:39], v[0:1], -2.0, v[6:7]
	v_fma_f64 v[0:1], v[96:97], 2.0, v[8:9]
	v_fma_f64 v[2:3], v[84:85], -2.0, v[10:11]
	;; [unrolled: 2-line block ×4, first 2 shown]
	ds_store_b128 v208, v[12:15]
	ds_store_b128 v208, v[8:11] offset:176
	ds_store_b128 v208, v[32:35] offset:352
	;; [unrolled: 1-line block ×8, first 2 shown]
	global_wb scope:SCOPE_SE
	s_wait_dscnt 0x0
	s_barrier_signal -1
	s_barrier_wait -1
	global_inv scope:SCOPE_SE
	ds_load_b128 v[4:7], v205
	ds_load_b128 v[8:11], v205 offset:704
	ds_load_b128 v[36:39], v205 offset:1584
	;; [unrolled: 1-line block ×7, first 2 shown]
	s_and_saveexec_b32 s1, s0
	s_cbranch_execz .LBB0_19
; %bb.18:
	ds_load_b128 v[0:3], v205 offset:1408
	ds_load_b128 v[72:75], v205 offset:2992
	ds_load_b128 v[76:79], v205 offset:4576
	ds_load_b128 v[68:71], v205 offset:6160
.LBB0_19:
	s_wait_alu 0xfffe
	s_or_b32 exec_lo, exec_lo, s1
	s_wait_dscnt 0x5
	v_mul_f64_e32 v[84:85], v[62:63], v[38:39]
	v_mul_f64_e32 v[62:63], v[62:63], v[36:37]
	s_wait_dscnt 0x3
	v_mul_f64_e32 v[86:87], v[46:47], v[42:43]
	v_mul_f64_e32 v[46:47], v[46:47], v[40:41]
	;; [unrolled: 3-line block ×3, first 2 shown]
	v_mul_f64_e32 v[90:91], v[54:55], v[14:15]
	v_mul_f64_e32 v[54:55], v[54:55], v[12:13]
	;; [unrolled: 1-line block ×4, first 2 shown]
	s_wait_dscnt 0x0
	v_mul_f64_e32 v[94:95], v[50:51], v[34:35]
	v_mul_f64_e32 v[50:51], v[50:51], v[32:33]
	v_fma_f64 v[36:37], v[60:61], v[36:37], v[84:85]
	v_fma_f64 v[38:39], v[60:61], v[38:39], -v[62:63]
	v_fma_f64 v[40:41], v[44:45], v[40:41], v[86:87]
	v_fma_f64 v[42:43], v[44:45], v[42:43], -v[46:47]
	;; [unrolled: 2-line block ×6, first 2 shown]
	v_add_f64_e64 v[40:41], v[4:5], -v[40:41]
	v_add_f64_e64 v[42:43], v[6:7], -v[42:43]
	;; [unrolled: 1-line block ×8, first 2 shown]
	v_fma_f64 v[52:53], v[4:5], 2.0, -v[40:41]
	v_fma_f64 v[54:55], v[6:7], 2.0, -v[42:43]
	;; [unrolled: 1-line block ×4, first 2 shown]
	v_add_f64_e32 v[4:5], v[40:41], v[46:47]
	v_add_f64_e64 v[6:7], v[42:43], -v[44:45]
	v_fma_f64 v[56:57], v[8:9], 2.0, -v[48:49]
	v_fma_f64 v[58:59], v[10:11], 2.0, -v[50:51]
	;; [unrolled: 1-line block ×4, first 2 shown]
	v_add_f64_e32 v[8:9], v[48:49], v[30:31]
	v_add_f64_e64 v[10:11], v[50:51], -v[28:29]
	v_add_f64_e64 v[12:13], v[52:53], -v[32:33]
	;; [unrolled: 1-line block ×3, first 2 shown]
	v_fma_f64 v[32:33], v[40:41], 2.0, -v[4:5]
	v_fma_f64 v[34:35], v[42:43], 2.0, -v[6:7]
	v_add_f64_e64 v[28:29], v[56:57], -v[36:37]
	v_add_f64_e64 v[30:31], v[58:59], -v[38:39]
	v_fma_f64 v[36:37], v[48:49], 2.0, -v[8:9]
	v_fma_f64 v[38:39], v[50:51], 2.0, -v[10:11]
	;; [unrolled: 1-line block ×6, first 2 shown]
	ds_store_b128 v205, v[32:35] offset:1584
	ds_store_b128 v205, v[36:39] offset:2288
	;; [unrolled: 1-line block ×4, first 2 shown]
	ds_store_b128 v205, v[40:43]
	ds_store_b128 v205, v[44:47] offset:704
	ds_store_b128 v205, v[4:7] offset:4752
	;; [unrolled: 1-line block ×3, first 2 shown]
	s_and_saveexec_b32 s1, s0
	s_cbranch_execz .LBB0_21
; %bb.20:
	v_mul_f64_e32 v[4:5], v[22:23], v[76:77]
	v_mul_f64_e32 v[6:7], v[26:27], v[74:75]
	;; [unrolled: 1-line block ×6, first 2 shown]
	v_fma_f64 v[4:5], v[20:21], v[78:79], -v[4:5]
	v_fma_f64 v[6:7], v[24:25], v[72:73], v[6:7]
	v_fma_f64 v[8:9], v[24:25], v[74:75], -v[8:9]
	v_fma_f64 v[10:11], v[16:17], v[70:71], -v[10:11]
	v_fma_f64 v[12:13], v[20:21], v[76:77], v[12:13]
	v_fma_f64 v[14:15], v[16:17], v[68:69], v[14:15]
	v_add_f64_e64 v[16:17], v[2:3], -v[4:5]
	s_delay_alu instid0(VALU_DEP_4) | instskip(NEXT) | instid1(VALU_DEP_4)
	v_add_f64_e64 v[10:11], v[8:9], -v[10:11]
	v_add_f64_e64 v[18:19], v[0:1], -v[12:13]
	s_delay_alu instid0(VALU_DEP_4) | instskip(NEXT) | instid1(VALU_DEP_4)
	v_add_f64_e64 v[4:5], v[6:7], -v[14:15]
	v_fma_f64 v[12:13], v[2:3], 2.0, -v[16:17]
	s_delay_alu instid0(VALU_DEP_4) | instskip(NEXT) | instid1(VALU_DEP_4)
	v_fma_f64 v[8:9], v[8:9], 2.0, -v[10:11]
	v_fma_f64 v[20:21], v[0:1], 2.0, -v[18:19]
	s_delay_alu instid0(VALU_DEP_4) | instskip(SKIP_1) | instid1(VALU_DEP_4)
	v_fma_f64 v[0:1], v[6:7], 2.0, -v[4:5]
	v_add_f64_e64 v[2:3], v[16:17], -v[4:5]
	v_add_f64_e64 v[6:7], v[12:13], -v[8:9]
	s_delay_alu instid0(VALU_DEP_3) | instskip(SKIP_1) | instid1(VALU_DEP_4)
	v_add_f64_e64 v[4:5], v[20:21], -v[0:1]
	v_add_f64_e32 v[0:1], v[18:19], v[10:11]
	v_fma_f64 v[10:11], v[16:17], 2.0, -v[2:3]
	s_delay_alu instid0(VALU_DEP_4) | instskip(NEXT) | instid1(VALU_DEP_4)
	v_fma_f64 v[14:15], v[12:13], 2.0, -v[6:7]
	v_fma_f64 v[12:13], v[20:21], 2.0, -v[4:5]
	s_delay_alu instid0(VALU_DEP_4)
	v_fma_f64 v[8:9], v[18:19], 2.0, -v[0:1]
	ds_store_b128 v205, v[12:15] offset:1408
	ds_store_b128 v205, v[8:11] offset:2992
	;; [unrolled: 1-line block ×4, first 2 shown]
.LBB0_21:
	s_wait_alu 0xfffe
	s_or_b32 exec_lo, exec_lo, s1
	global_wb scope:SCOPE_SE
	s_wait_dscnt 0x0
	s_barrier_signal -1
	s_barrier_wait -1
	global_inv scope:SCOPE_SE
	s_and_b32 exec_lo, exec_lo, vcc_lo
	s_cbranch_execz .LBB0_23
; %bb.22:
	s_clause 0xa
	global_load_b128 v[0:3], v205, s[12:13]
	global_load_b128 v[4:7], v205, s[12:13] offset:576
	global_load_b128 v[8:11], v205, s[12:13] offset:1152
	;; [unrolled: 1-line block ×10, first 2 shown]
	v_mad_co_u64_u32 v[88:89], null, s6, v124, 0
	v_mad_co_u64_u32 v[90:91], null, s4, v206, 0
	ds_load_b128 v[44:47], v205
	ds_load_b128 v[48:51], v205 offset:576
	ds_load_b128 v[52:55], v205 offset:1152
	;; [unrolled: 1-line block ×3, first 2 shown]
	s_mul_u64 s[0:1], s[4:5], 0x240
	s_mov_b32 s2, 0xa052bf5b
	v_mov_b32_e32 v60, v89
	s_mov_b32 s3, 0x3f64afd6
	v_mov_b32_e32 v68, v91
	s_delay_alu instid0(VALU_DEP_2)
	v_mad_co_u64_u32 v[76:77], null, s7, v124, v[60:61]
	ds_load_b128 v[60:63], v205 offset:2304
	ds_load_b128 v[64:67], v205 offset:2880
	v_mad_co_u64_u32 v[91:92], null, s5, v206, v[68:69]
	ds_load_b128 v[68:71], v205 offset:3456
	ds_load_b128 v[72:75], v205 offset:4032
	v_mov_b32_e32 v89, v76
	ds_load_b128 v[76:79], v205 offset:4608
	ds_load_b128 v[80:83], v205 offset:5184
	;; [unrolled: 1-line block ×3, first 2 shown]
	v_lshlrev_b64_e32 v[90:91], 4, v[90:91]
	v_lshlrev_b64_e32 v[88:89], 4, v[88:89]
	s_delay_alu instid0(VALU_DEP_1) | instskip(NEXT) | instid1(VALU_DEP_2)
	v_add_co_u32 v88, vcc_lo, s8, v88
	v_add_co_ci_u32_e32 v89, vcc_lo, s9, v89, vcc_lo
	s_delay_alu instid0(VALU_DEP_2) | instskip(SKIP_1) | instid1(VALU_DEP_2)
	v_add_co_u32 v88, vcc_lo, v88, v90
	s_wait_alu 0xfffd
	v_add_co_ci_u32_e32 v89, vcc_lo, v89, v91, vcc_lo
	s_wait_alu 0xfffe
	s_delay_alu instid0(VALU_DEP_2) | instskip(SKIP_1) | instid1(VALU_DEP_2)
	v_add_co_u32 v90, vcc_lo, v88, s0
	s_wait_alu 0xfffd
	v_add_co_ci_u32_e32 v91, vcc_lo, s1, v89, vcc_lo
	s_wait_loadcnt_dscnt 0xa0a
	v_mul_f64_e32 v[92:93], v[46:47], v[2:3]
	v_mul_f64_e32 v[2:3], v[44:45], v[2:3]
	s_wait_loadcnt_dscnt 0x909
	v_mul_f64_e32 v[94:95], v[50:51], v[6:7]
	v_mul_f64_e32 v[6:7], v[48:49], v[6:7]
	;; [unrolled: 3-line block ×11, first 2 shown]
	v_fma_f64 v[44:45], v[44:45], v[0:1], v[92:93]
	v_fma_f64 v[2:3], v[0:1], v[46:47], -v[2:3]
	v_fma_f64 v[46:47], v[48:49], v[4:5], v[94:95]
	v_fma_f64 v[6:7], v[4:5], v[50:51], -v[6:7]
	;; [unrolled: 2-line block ×11, first 2 shown]
	v_add_co_u32 v66, vcc_lo, v90, s0
	s_wait_alu 0xfffd
	v_add_co_ci_u32_e32 v67, vcc_lo, s1, v91, vcc_lo
	s_delay_alu instid0(VALU_DEP_2) | instskip(SKIP_1) | instid1(VALU_DEP_2)
	v_add_co_u32 v68, vcc_lo, v66, s0
	s_wait_alu 0xfffd
	v_add_co_ci_u32_e32 v69, vcc_lo, s1, v67, vcc_lo
	s_delay_alu instid0(VALU_DEP_2) | instskip(SKIP_1) | instid1(VALU_DEP_2)
	v_add_co_u32 v70, vcc_lo, v68, s0
	s_wait_alu 0xfffd
	v_add_co_ci_u32_e32 v71, vcc_lo, s1, v69, vcc_lo
	v_mul_f64_e32 v[0:1], s[2:3], v[44:45]
	v_mul_f64_e32 v[2:3], s[2:3], v[2:3]
	;; [unrolled: 1-line block ×22, first 2 shown]
	v_add_co_u32 v44, vcc_lo, v70, s0
	s_wait_alu 0xfffd
	v_add_co_ci_u32_e32 v45, vcc_lo, s1, v71, vcc_lo
	s_delay_alu instid0(VALU_DEP_2) | instskip(SKIP_1) | instid1(VALU_DEP_2)
	v_add_co_u32 v46, vcc_lo, v44, s0
	s_wait_alu 0xfffd
	v_add_co_ci_u32_e32 v47, vcc_lo, s1, v45, vcc_lo
	s_delay_alu instid0(VALU_DEP_2) | instskip(SKIP_1) | instid1(VALU_DEP_2)
	;; [unrolled: 4-line block ×5, first 2 shown]
	v_add_co_u32 v54, vcc_lo, v52, s0
	s_wait_alu 0xfffd
	v_add_co_ci_u32_e32 v55, vcc_lo, s1, v53, vcc_lo
	s_clause 0x4
	global_store_b128 v[88:89], v[0:3], off
	global_store_b128 v[90:91], v[4:7], off
	;; [unrolled: 1-line block ×11, first 2 shown]
.LBB0_23:
	s_nop 0
	s_sendmsg sendmsg(MSG_DEALLOC_VGPRS)
	s_endpgm
	.section	.rodata,"a",@progbits
	.p2align	6, 0x0
	.amdhsa_kernel bluestein_single_fwd_len396_dim1_dp_op_CI_CI
		.amdhsa_group_segment_fixed_size 6336
		.amdhsa_private_segment_fixed_size 0
		.amdhsa_kernarg_size 104
		.amdhsa_user_sgpr_count 2
		.amdhsa_user_sgpr_dispatch_ptr 0
		.amdhsa_user_sgpr_queue_ptr 0
		.amdhsa_user_sgpr_kernarg_segment_ptr 1
		.amdhsa_user_sgpr_dispatch_id 0
		.amdhsa_user_sgpr_private_segment_size 0
		.amdhsa_wavefront_size32 1
		.amdhsa_uses_dynamic_stack 0
		.amdhsa_enable_private_segment 0
		.amdhsa_system_sgpr_workgroup_id_x 1
		.amdhsa_system_sgpr_workgroup_id_y 0
		.amdhsa_system_sgpr_workgroup_id_z 0
		.amdhsa_system_sgpr_workgroup_info 0
		.amdhsa_system_vgpr_workitem_id 0
		.amdhsa_next_free_vgpr 233
		.amdhsa_next_free_sgpr 40
		.amdhsa_reserve_vcc 1
		.amdhsa_float_round_mode_32 0
		.amdhsa_float_round_mode_16_64 0
		.amdhsa_float_denorm_mode_32 3
		.amdhsa_float_denorm_mode_16_64 3
		.amdhsa_fp16_overflow 0
		.amdhsa_workgroup_processor_mode 1
		.amdhsa_memory_ordered 1
		.amdhsa_forward_progress 0
		.amdhsa_round_robin_scheduling 0
		.amdhsa_exception_fp_ieee_invalid_op 0
		.amdhsa_exception_fp_denorm_src 0
		.amdhsa_exception_fp_ieee_div_zero 0
		.amdhsa_exception_fp_ieee_overflow 0
		.amdhsa_exception_fp_ieee_underflow 0
		.amdhsa_exception_fp_ieee_inexact 0
		.amdhsa_exception_int_div_zero 0
	.end_amdhsa_kernel
	.text
.Lfunc_end0:
	.size	bluestein_single_fwd_len396_dim1_dp_op_CI_CI, .Lfunc_end0-bluestein_single_fwd_len396_dim1_dp_op_CI_CI
                                        ; -- End function
	.section	.AMDGPU.csdata,"",@progbits
; Kernel info:
; codeLenInByte = 12220
; NumSgprs: 42
; NumVgprs: 233
; ScratchSize: 0
; MemoryBound: 0
; FloatMode: 240
; IeeeMode: 1
; LDSByteSize: 6336 bytes/workgroup (compile time only)
; SGPRBlocks: 5
; VGPRBlocks: 29
; NumSGPRsForWavesPerEU: 42
; NumVGPRsForWavesPerEU: 233
; Occupancy: 6
; WaveLimiterHint : 1
; COMPUTE_PGM_RSRC2:SCRATCH_EN: 0
; COMPUTE_PGM_RSRC2:USER_SGPR: 2
; COMPUTE_PGM_RSRC2:TRAP_HANDLER: 0
; COMPUTE_PGM_RSRC2:TGID_X_EN: 1
; COMPUTE_PGM_RSRC2:TGID_Y_EN: 0
; COMPUTE_PGM_RSRC2:TGID_Z_EN: 0
; COMPUTE_PGM_RSRC2:TIDIG_COMP_CNT: 0
	.text
	.p2alignl 7, 3214868480
	.fill 96, 4, 3214868480
	.type	__hip_cuid_7a90c6ab55a05772,@object ; @__hip_cuid_7a90c6ab55a05772
	.section	.bss,"aw",@nobits
	.globl	__hip_cuid_7a90c6ab55a05772
__hip_cuid_7a90c6ab55a05772:
	.byte	0                               ; 0x0
	.size	__hip_cuid_7a90c6ab55a05772, 1

	.ident	"AMD clang version 19.0.0git (https://github.com/RadeonOpenCompute/llvm-project roc-6.4.0 25133 c7fe45cf4b819c5991fe208aaa96edf142730f1d)"
	.section	".note.GNU-stack","",@progbits
	.addrsig
	.addrsig_sym __hip_cuid_7a90c6ab55a05772
	.amdgpu_metadata
---
amdhsa.kernels:
  - .args:
      - .actual_access:  read_only
        .address_space:  global
        .offset:         0
        .size:           8
        .value_kind:     global_buffer
      - .actual_access:  read_only
        .address_space:  global
        .offset:         8
        .size:           8
        .value_kind:     global_buffer
      - .actual_access:  read_only
        .address_space:  global
        .offset:         16
        .size:           8
        .value_kind:     global_buffer
      - .actual_access:  read_only
        .address_space:  global
        .offset:         24
        .size:           8
        .value_kind:     global_buffer
      - .actual_access:  read_only
        .address_space:  global
        .offset:         32
        .size:           8
        .value_kind:     global_buffer
      - .offset:         40
        .size:           8
        .value_kind:     by_value
      - .address_space:  global
        .offset:         48
        .size:           8
        .value_kind:     global_buffer
      - .address_space:  global
        .offset:         56
        .size:           8
        .value_kind:     global_buffer
      - .address_space:  global
        .offset:         64
        .size:           8
        .value_kind:     global_buffer
      - .address_space:  global
        .offset:         72
        .size:           8
        .value_kind:     global_buffer
      - .offset:         80
        .size:           4
        .value_kind:     by_value
      - .address_space:  global
        .offset:         88
        .size:           8
        .value_kind:     global_buffer
      - .address_space:  global
        .offset:         96
        .size:           8
        .value_kind:     global_buffer
    .group_segment_fixed_size: 6336
    .kernarg_segment_align: 8
    .kernarg_segment_size: 104
    .language:       OpenCL C
    .language_version:
      - 2
      - 0
    .max_flat_workgroup_size: 44
    .name:           bluestein_single_fwd_len396_dim1_dp_op_CI_CI
    .private_segment_fixed_size: 0
    .sgpr_count:     42
    .sgpr_spill_count: 0
    .symbol:         bluestein_single_fwd_len396_dim1_dp_op_CI_CI.kd
    .uniform_work_group_size: 1
    .uses_dynamic_stack: false
    .vgpr_count:     233
    .vgpr_spill_count: 0
    .wavefront_size: 32
    .workgroup_processor_mode: 1
amdhsa.target:   amdgcn-amd-amdhsa--gfx1201
amdhsa.version:
  - 1
  - 2
...

	.end_amdgpu_metadata
